;; amdgpu-corpus repo=ROCm/rocFFT kind=compiled arch=gfx906 opt=O3
	.text
	.amdgcn_target "amdgcn-amd-amdhsa--gfx906"
	.amdhsa_code_object_version 6
	.protected	bluestein_single_back_len1344_dim1_half_op_CI_CI ; -- Begin function bluestein_single_back_len1344_dim1_half_op_CI_CI
	.globl	bluestein_single_back_len1344_dim1_half_op_CI_CI
	.p2align	8
	.type	bluestein_single_back_len1344_dim1_half_op_CI_CI,@function
bluestein_single_back_len1344_dim1_half_op_CI_CI: ; @bluestein_single_back_len1344_dim1_half_op_CI_CI
; %bb.0:
	s_load_dwordx4 s[16:19], s[4:5], 0x28
	v_mul_u32_u24_e32 v1, 0x125, v0
	v_add_u32_sdwa v4, s6, v1 dst_sel:DWORD dst_unused:UNUSED_PAD src0_sel:DWORD src1_sel:WORD_1
	v_mov_b32_e32 v5, 0
	s_waitcnt lgkmcnt(0)
	v_cmp_gt_u64_e32 vcc, s[16:17], v[4:5]
	s_and_saveexec_b64 s[0:1], vcc
	s_cbranch_execz .LBB0_10
; %bb.1:
	s_load_dwordx4 s[0:3], s[4:5], 0x18
	s_load_dwordx4 s[12:15], s[4:5], 0x0
	v_mov_b32_e32 v8, 0xfffff900
	s_load_dwordx2 s[4:5], s[4:5], 0x38
                                        ; implicit-def: $vgpr59
	s_waitcnt lgkmcnt(0)
	s_load_dwordx4 s[8:11], s[0:1], 0x0
	s_movk_i32 s0, 0xe0
	v_mul_lo_u16_sdwa v1, v1, s0 dst_sel:DWORD dst_unused:UNUSED_PAD src0_sel:WORD_1 src1_sel:DWORD
	v_sub_u16_e32 v22, v0, v1
	v_lshlrev_b32_e32 v19, 2, v22
	s_waitcnt lgkmcnt(0)
	v_mad_u64_u32 v[0:1], s[0:1], s10, v4, 0
	v_mad_u64_u32 v[2:3], s[0:1], s8, v22, 0
	s_mul_i32 s7, s8, 0xa80
	global_load_dword v24, v19, s[12:13]
	v_mad_u64_u32 v[5:6], s[0:1], s11, v4, v[1:2]
	v_mad_u64_u32 v[6:7], s[0:1], s9, v22, v[3:4]
	v_mov_b32_e32 v1, v5
	v_lshlrev_b64 v[0:1], 2, v[0:1]
	v_mov_b32_e32 v7, s19
	v_mov_b32_e32 v3, v6
	v_add_co_u32_e32 v5, vcc, s18, v0
	v_addc_co_u32_e32 v6, vcc, v7, v1, vcc
	v_lshlrev_b64 v[0:1], 2, v[2:3]
	v_mov_b32_e32 v2, s13
	v_add_co_u32_e32 v0, vcc, v5, v0
	v_addc_co_u32_e32 v1, vcc, v6, v1, vcc
	v_add_co_u32_e32 v25, vcc, s12, v19
	v_addc_co_u32_e64 v5, s[0:1], 0, v2, vcc
	s_mul_i32 s0, s9, 0xa80
	s_mul_hi_u32 s1, s8, 0xa80
	s_add_i32 s6, s1, s0
	v_mov_b32_e32 v3, s6
	v_add_co_u32_e64 v2, s[0:1], s7, v0
	v_addc_co_u32_e64 v3, s[0:1], v1, v3, s[0:1]
	global_load_dword v6, v[0:1], off
	global_load_dword v7, v[2:3], off
	v_mad_u64_u32 v[0:1], s[0:1], s8, v8, v[2:3]
	s_mul_i32 s0, s9, 0xfffff900
	s_sub_i32 s9, s0, s8
	v_add_u32_e32 v1, s9, v1
	global_load_dword v9, v[0:1], off
	v_mov_b32_e32 v2, s6
	v_add_co_u32_e64 v0, s[0:1], s7, v0
	global_load_dword v23, v19, s[12:13] offset:2688
	v_addc_co_u32_e64 v1, s[0:1], v1, v2, s[0:1]
	v_mad_u64_u32 v[2:3], s[0:1], s8, v8, v[0:1]
	global_load_dword v21, v19, s[12:13] offset:896
	global_load_dword v8, v[0:1], off
	global_load_dword v20, v19, s[12:13] offset:3584
	v_mov_b32_e32 v1, s6
	v_add_u32_e32 v3, s9, v3
	v_add_co_u32_e64 v0, s[0:1], s7, v2
	v_addc_co_u32_e64 v1, s[0:1], v3, v1, s[0:1]
	s_movk_i32 s0, 0x1000
	global_load_dword v10, v[2:3], off
	global_load_dword v18, v19, s[12:13] offset:1792
	s_nop 0
	global_load_dword v2, v[0:1], off
	v_add_co_u32_e64 v0, s[0:1], s0, v25
	v_addc_co_u32_e64 v1, s[0:1], 0, v5, s[0:1]
	global_load_dword v17, v[0:1], off offset:384
	v_add_u32_e32 v0, 0xe00, v19
	s_load_dwordx4 s[8:11], s[2:3], 0x0
	v_lshlrev_b32_e32 v27, 3, v22
	s_movk_i32 s0, 0x1fc
	v_add_u32_e32 v44, 0xe0, v22
	s_movk_i32 s1, 0x3fc
	s_movk_i32 s2, 0x7fc
	s_waitcnt vmcnt(10)
	v_lshrrev_b32_e32 v1, 16, v6
	v_mul_f16_sdwa v3, v24, v6 dst_sel:DWORD dst_unused:UNUSED_PAD src0_sel:WORD_1 src1_sel:DWORD
	v_fma_f16 v3, v24, v1, -v3
	v_mul_f16_sdwa v1, v24, v1 dst_sel:DWORD dst_unused:UNUSED_PAD src0_sel:WORD_1 src1_sel:DWORD
	s_waitcnt vmcnt(9)
	v_lshrrev_b32_e32 v5, 16, v7
	v_fma_f16 v1, v24, v6, v1
	v_pack_b32_f16 v1, v1, v3
	s_waitcnt vmcnt(7)
	v_mul_f16_sdwa v11, v23, v7 dst_sel:DWORD dst_unused:UNUSED_PAD src0_sel:WORD_1 src1_sel:DWORD
	v_fma_f16 v6, v23, v5, -v11
	v_mul_f16_sdwa v5, v23, v5 dst_sel:DWORD dst_unused:UNUSED_PAD src0_sel:WORD_1 src1_sel:DWORD
	v_fma_f16 v3, v23, v7, v5
	v_pack_b32_f16 v3, v3, v6
	ds_write_b32 v19, v3 offset:2688
	v_lshrrev_b32_e32 v3, 16, v9
	s_waitcnt vmcnt(6)
	v_mul_f16_sdwa v5, v21, v9 dst_sel:DWORD dst_unused:UNUSED_PAD src0_sel:WORD_1 src1_sel:DWORD
	v_mul_f16_sdwa v6, v21, v3 dst_sel:DWORD dst_unused:UNUSED_PAD src0_sel:WORD_1 src1_sel:DWORD
	v_fma_f16 v3, v21, v3, -v5
	s_waitcnt vmcnt(5)
	v_lshrrev_b32_e32 v5, 16, v8
	s_waitcnt vmcnt(4)
	v_mul_f16_sdwa v7, v20, v8 dst_sel:DWORD dst_unused:UNUSED_PAD src0_sel:WORD_1 src1_sel:DWORD
	v_fma_f16 v6, v21, v9, v6
	v_fma_f16 v7, v20, v5, -v7
	v_mul_f16_sdwa v5, v20, v5 dst_sel:DWORD dst_unused:UNUSED_PAD src0_sel:WORD_1 src1_sel:DWORD
	v_pack_b32_f16 v3, v6, v3
	v_fma_f16 v5, v20, v8, v5
	ds_write2_b32 v19, v1, v3 offset1:224
	v_pack_b32_f16 v1, v5, v7
	s_waitcnt vmcnt(3)
	v_lshrrev_b32_e32 v3, 16, v10
	s_waitcnt vmcnt(2)
	v_mul_f16_sdwa v5, v18, v10 dst_sel:DWORD dst_unused:UNUSED_PAD src0_sel:WORD_1 src1_sel:DWORD
	v_mul_f16_sdwa v6, v18, v3 dst_sel:DWORD dst_unused:UNUSED_PAD src0_sel:WORD_1 src1_sel:DWORD
	v_fma_f16 v3, v18, v3, -v5
	s_waitcnt vmcnt(1)
	v_lshrrev_b32_e32 v5, 16, v2
	s_waitcnt vmcnt(0)
	v_mul_f16_sdwa v7, v17, v2 dst_sel:DWORD dst_unused:UNUSED_PAD src0_sel:WORD_1 src1_sel:DWORD
	v_mul_f16_sdwa v8, v17, v5 dst_sel:DWORD dst_unused:UNUSED_PAD src0_sel:WORD_1 src1_sel:DWORD
	v_fma_f16 v5, v17, v5, -v7
	v_fma_f16 v2, v17, v2, v8
	v_fma_f16 v6, v18, v10, v6
	v_pack_b32_f16 v2, v2, v5
	v_pack_b32_f16 v3, v6, v3
	ds_write2_b32 v0, v1, v2 offset1:224
	v_add_u32_e32 v1, 0x700, v19
	ds_write_b32 v19, v3 offset:1792
	s_waitcnt lgkmcnt(0)
	s_barrier
	ds_read2_b32 v[2:3], v19 offset1:224
	ds_read2_b32 v[5:6], v1 offset1:224
	;; [unrolled: 1-line block ×3, first 2 shown]
	s_waitcnt lgkmcnt(0)
	s_barrier
	v_pk_add_f16 v10, v2, v6 neg_lo:[0,1] neg_hi:[0,1]
	v_pk_add_f16 v7, v3, v7 neg_lo:[0,1] neg_hi:[0,1]
	v_pk_fma_f16 v9, v2, 2.0, v10 op_sel_hi:[1,0,1] neg_lo:[0,0,1] neg_hi:[0,0,1]
	v_pk_fma_f16 v6, v3, 2.0, v7 op_sel_hi:[1,0,1] neg_lo:[0,0,1] neg_hi:[0,0,1]
	ds_write2_b64 v27, v[9:10], v[6:7] offset1:224
	v_lshlrev_b32_e32 v2, 1, v22
	v_pk_add_f16 v6, v5, v8 neg_lo:[0,1] neg_hi:[0,1]
	v_lshlrev_b32_e32 v3, 2, v2
	v_pk_fma_f16 v5, v5, 2.0, v6 op_sel_hi:[1,0,1] neg_lo:[0,0,1] neg_hi:[0,0,1]
	ds_write_b64 v3, v[5:6] offset:3584
	v_and_b32_e32 v5, 1, v22
	v_lshlrev_b32_e32 v3, 2, v5
	s_waitcnt lgkmcnt(0)
	s_barrier
	global_load_dword v26, v3, s[14:15]
	v_and_or_b32 v6, v2, s0, v5
	v_lshlrev_b32_e32 v3, 1, v44
	v_add_u32_e32 v45, 0x380, v2
	v_lshlrev_b32_e32 v29, 2, v6
	v_and_or_b32 v6, v3, s1, v5
	v_and_or_b32 v5, v45, s2, v5
	v_lshlrev_b32_e32 v30, 2, v6
	v_lshlrev_b32_e32 v28, 2, v5
	ds_read2_b32 v[5:6], v1 offset1:224
	ds_read2_b32 v[7:8], v19 offset1:224
	ds_read2_b32 v[9:10], v0 offset1:224
	v_and_b32_e32 v11, 3, v22
	v_lshlrev_b32_e32 v12, 2, v11
	s_waitcnt lgkmcnt(2)
	v_lshrrev_b32_e32 v13, 16, v6
	s_waitcnt lgkmcnt(1)
	v_lshrrev_b32_e32 v14, 16, v7
	s_waitcnt lgkmcnt(0)
	v_lshrrev_b32_e32 v15, 16, v9
	v_lshrrev_b32_e32 v31, 16, v10
	v_lshrrev_b32_e32 v16, 16, v8
	v_lshrrev_b32_e32 v32, 16, v5
	s_waitcnt vmcnt(0)
	s_barrier
	s_movk_i32 s0, 0x1f8
	s_movk_i32 s1, 0x3f8
	s_movk_i32 s2, 0x7f8
	v_mul_f16_sdwa v33, v6, v26 dst_sel:DWORD dst_unused:UNUSED_PAD src0_sel:DWORD src1_sel:WORD_1
	v_mul_f16_sdwa v34, v13, v26 dst_sel:DWORD dst_unused:UNUSED_PAD src0_sel:DWORD src1_sel:WORD_1
	v_mul_f16_sdwa v35, v9, v26 dst_sel:DWORD dst_unused:UNUSED_PAD src0_sel:DWORD src1_sel:WORD_1
	v_mul_f16_sdwa v36, v15, v26 dst_sel:DWORD dst_unused:UNUSED_PAD src0_sel:DWORD src1_sel:WORD_1
	v_mul_f16_sdwa v37, v31, v26 dst_sel:DWORD dst_unused:UNUSED_PAD src0_sel:DWORD src1_sel:WORD_1
	v_mul_f16_sdwa v38, v10, v26 dst_sel:DWORD dst_unused:UNUSED_PAD src0_sel:DWORD src1_sel:WORD_1
	v_fma_f16 v13, v13, v26, v33
	v_fma_f16 v6, v6, v26, -v34
	v_fma_f16 v15, v15, v26, v35
	v_fma_f16 v9, v9, v26, -v36
	v_fma_f16 v10, v10, v26, -v37
	v_fma_f16 v31, v31, v26, v38
	v_sub_f16_e32 v6, v7, v6
	v_sub_f16_e32 v13, v14, v13
	v_sub_f16_e32 v9, v8, v9
	v_sub_f16_e32 v15, v16, v15
	v_sub_f16_e32 v10, v5, v10
	v_sub_f16_e32 v31, v32, v31
	v_fma_f16 v14, v14, 2.0, -v13
	v_pack_b32_f16 v13, v6, v13
	v_fma_f16 v6, v7, 2.0, -v6
	v_fma_f16 v7, v8, 2.0, -v9
	v_fma_f16 v8, v16, 2.0, -v15
	v_pack_b32_f16 v9, v9, v15
	v_fma_f16 v5, v5, 2.0, -v10
	v_fma_f16 v15, v32, 2.0, -v31
	v_pack_b32_f16 v6, v6, v14
	v_pack_b32_f16 v10, v10, v31
	v_pack_b32_f16 v7, v7, v8
	v_pack_b32_f16 v5, v5, v15
	ds_write2_b32 v29, v6, v13 offset1:2
	ds_write2_b32 v30, v7, v9 offset1:2
	ds_write2_b32 v28, v5, v10 offset1:2
	s_waitcnt lgkmcnt(0)
	s_barrier
	global_load_dword v31, v12, s[14:15] offset:8
	v_and_or_b32 v5, v2, s0, v11
	v_lshlrev_b32_e32 v33, 2, v5
	v_and_or_b32 v5, v3, s1, v11
	v_and_or_b32 v6, v45, s2, v11
	v_lshlrev_b32_e32 v34, 2, v5
	v_lshlrev_b32_e32 v32, 2, v6
	ds_read2_b32 v[5:6], v1 offset1:224
	ds_read2_b32 v[7:8], v19 offset1:224
	ds_read2_b32 v[9:10], v0 offset1:224
	v_and_b32_e32 v12, 7, v22
	v_lshlrev_b32_e32 v13, 2, v12
	s_waitcnt lgkmcnt(2)
	v_lshrrev_b32_e32 v11, 16, v6
	s_waitcnt lgkmcnt(1)
	v_lshrrev_b32_e32 v14, 16, v7
	s_waitcnt lgkmcnt(0)
	v_lshrrev_b32_e32 v15, 16, v9
	v_lshrrev_b32_e32 v35, 16, v10
	v_lshrrev_b32_e32 v16, 16, v8
	v_lshrrev_b32_e32 v36, 16, v5
	s_waitcnt vmcnt(0)
	s_barrier
	s_movk_i32 s0, 0x1f0
	s_movk_i32 s1, 0x3f0
	s_movk_i32 s2, 0x7f0
	v_mul_f16_sdwa v37, v6, v31 dst_sel:DWORD dst_unused:UNUSED_PAD src0_sel:DWORD src1_sel:WORD_1
	v_mul_f16_sdwa v38, v11, v31 dst_sel:DWORD dst_unused:UNUSED_PAD src0_sel:DWORD src1_sel:WORD_1
	v_mul_f16_sdwa v39, v9, v31 dst_sel:DWORD dst_unused:UNUSED_PAD src0_sel:DWORD src1_sel:WORD_1
	v_mul_f16_sdwa v40, v15, v31 dst_sel:DWORD dst_unused:UNUSED_PAD src0_sel:DWORD src1_sel:WORD_1
	v_mul_f16_sdwa v41, v35, v31 dst_sel:DWORD dst_unused:UNUSED_PAD src0_sel:DWORD src1_sel:WORD_1
	v_mul_f16_sdwa v42, v10, v31 dst_sel:DWORD dst_unused:UNUSED_PAD src0_sel:DWORD src1_sel:WORD_1
	v_fma_f16 v11, v11, v31, v37
	v_fma_f16 v6, v6, v31, -v38
	v_fma_f16 v15, v15, v31, v39
	v_fma_f16 v9, v9, v31, -v40
	v_fma_f16 v10, v10, v31, -v41
	v_fma_f16 v35, v35, v31, v42
	v_sub_f16_e32 v6, v7, v6
	v_sub_f16_e32 v11, v14, v11
	v_sub_f16_e32 v9, v8, v9
	v_sub_f16_e32 v15, v16, v15
	v_sub_f16_e32 v10, v5, v10
	v_sub_f16_e32 v35, v36, v35
	v_fma_f16 v14, v14, 2.0, -v11
	v_pack_b32_f16 v11, v6, v11
	v_fma_f16 v6, v7, 2.0, -v6
	v_fma_f16 v7, v8, 2.0, -v9
	v_fma_f16 v8, v16, 2.0, -v15
	v_pack_b32_f16 v9, v9, v15
	v_fma_f16 v5, v5, 2.0, -v10
	v_fma_f16 v15, v36, 2.0, -v35
	v_pack_b32_f16 v6, v6, v14
	v_pack_b32_f16 v10, v10, v35
	v_pack_b32_f16 v7, v7, v8
	v_pack_b32_f16 v5, v5, v15
	ds_write2_b32 v33, v6, v11 offset1:4
	ds_write2_b32 v34, v7, v9 offset1:4
	ds_write2_b32 v32, v5, v10 offset1:4
	s_waitcnt lgkmcnt(0)
	s_barrier
	global_load_dword v35, v13, s[14:15] offset:24
	v_and_or_b32 v5, v2, s0, v12
	;; [unrolled: 61-line block ×3, first 2 shown]
	v_lshlrev_b32_e32 v41, 2, v5
	v_and_or_b32 v5, v3, s1, v11
	v_and_or_b32 v6, v45, s2, v11
	v_lshlrev_b32_e32 v42, 2, v5
	v_lshlrev_b32_e32 v40, 2, v6
	ds_read2_b32 v[5:6], v1 offset1:224
	ds_read2_b32 v[7:8], v19 offset1:224
	;; [unrolled: 1-line block ×3, first 2 shown]
	v_and_b32_e32 v12, 31, v22
	v_lshlrev_b32_e32 v13, 2, v12
	s_waitcnt lgkmcnt(2)
	v_lshrrev_b32_e32 v11, 16, v6
	s_waitcnt lgkmcnt(1)
	v_lshrrev_b32_e32 v14, 16, v7
	;; [unrolled: 2-line block ×3, first 2 shown]
	v_lshrrev_b32_e32 v43, 16, v10
	v_lshrrev_b32_e32 v16, 16, v8
	;; [unrolled: 1-line block ×3, first 2 shown]
	s_waitcnt vmcnt(0)
	s_barrier
	s_movk_i32 s0, 0x1c0
	s_movk_i32 s1, 0x3c0
	;; [unrolled: 1-line block ×3, first 2 shown]
	v_and_or_b32 v2, v2, s0, v12
	s_movk_i32 s0, 0x3aee
	v_mul_f16_sdwa v47, v6, v39 dst_sel:DWORD dst_unused:UNUSED_PAD src0_sel:DWORD src1_sel:WORD_1
	v_mul_f16_sdwa v48, v11, v39 dst_sel:DWORD dst_unused:UNUSED_PAD src0_sel:DWORD src1_sel:WORD_1
	;; [unrolled: 1-line block ×6, first 2 shown]
	v_fma_f16 v11, v11, v39, v47
	v_fma_f16 v6, v6, v39, -v48
	v_fma_f16 v15, v15, v39, v49
	v_fma_f16 v9, v9, v39, -v50
	v_fma_f16 v10, v10, v39, -v51
	v_fma_f16 v43, v43, v39, v52
	v_sub_f16_e32 v6, v7, v6
	v_sub_f16_e32 v11, v14, v11
	;; [unrolled: 1-line block ×6, first 2 shown]
	v_fma_f16 v14, v14, 2.0, -v11
	v_pack_b32_f16 v11, v6, v11
	v_fma_f16 v6, v7, 2.0, -v6
	v_fma_f16 v7, v8, 2.0, -v9
	;; [unrolled: 1-line block ×3, first 2 shown]
	v_pack_b32_f16 v9, v9, v15
	v_fma_f16 v5, v5, 2.0, -v10
	v_fma_f16 v15, v46, 2.0, -v43
	v_pack_b32_f16 v6, v6, v14
	v_pack_b32_f16 v10, v10, v43
	v_pack_b32_f16 v7, v7, v8
	v_pack_b32_f16 v5, v5, v15
	ds_write2_b32 v41, v6, v11 offset1:16
	ds_write2_b32 v42, v7, v9 offset1:16
	;; [unrolled: 1-line block ×3, first 2 shown]
	s_waitcnt lgkmcnt(0)
	s_barrier
	global_load_dword v43, v13, s[14:15] offset:120
	v_lshlrev_b32_e32 v47, 2, v2
	v_and_or_b32 v2, v3, s1, v12
	v_and_or_b32 v3, v45, s2, v12
	v_lshlrev_b32_e32 v48, 2, v2
	v_lshlrev_b32_e32 v46, 2, v3
	ds_read2_b32 v[2:3], v1 offset1:224
	ds_read2_b32 v[5:6], v19 offset1:224
	;; [unrolled: 1-line block ×3, first 2 shown]
	v_and_b32_e32 v9, 63, v44
	s_waitcnt lgkmcnt(0)
	v_lshrrev_b32_e32 v11, 16, v3
	v_lshrrev_b32_e32 v12, 16, v5
	;; [unrolled: 1-line block ×6, first 2 shown]
	s_waitcnt vmcnt(0)
	s_barrier
	v_lshlrev_b32_e32 v10, 3, v9
	s_mov_b32 s1, 0xbaee
	s_movk_i32 s2, 0xc0
	v_mul_f16_sdwa v49, v3, v43 dst_sel:DWORD dst_unused:UNUSED_PAD src0_sel:DWORD src1_sel:WORD_1
	v_mul_f16_sdwa v50, v11, v43 dst_sel:DWORD dst_unused:UNUSED_PAD src0_sel:DWORD src1_sel:WORD_1
	;; [unrolled: 1-line block ×6, first 2 shown]
	v_fma_f16 v11, v11, v43, v49
	v_fma_f16 v3, v3, v43, -v50
	v_fma_f16 v13, v13, v43, v51
	v_fma_f16 v7, v7, v43, -v52
	v_fma_f16 v8, v8, v43, -v53
	v_fma_f16 v15, v15, v43, v54
	v_sub_f16_e32 v3, v5, v3
	v_sub_f16_e32 v11, v12, v11
	;; [unrolled: 1-line block ×6, first 2 shown]
	v_fma_f16 v12, v12, 2.0, -v11
	v_pack_b32_f16 v11, v3, v11
	v_fma_f16 v3, v5, 2.0, -v3
	v_fma_f16 v5, v6, 2.0, -v7
	;; [unrolled: 1-line block ×3, first 2 shown]
	v_pack_b32_f16 v7, v7, v13
	v_fma_f16 v2, v2, 2.0, -v8
	v_fma_f16 v13, v16, 2.0, -v15
	v_pack_b32_f16 v3, v3, v12
	v_pack_b32_f16 v2, v2, v13
	;; [unrolled: 1-line block ×4, first 2 shown]
	ds_write2_b32 v47, v3, v11 offset1:32
	ds_write2_b32 v48, v5, v7 offset1:32
	;; [unrolled: 1-line block ×3, first 2 shown]
	v_and_b32_e32 v2, 63, v22
	v_lshlrev_b32_e32 v3, 3, v2
	s_waitcnt lgkmcnt(0)
	s_barrier
	global_load_dwordx2 v[5:6], v10, s[14:15] offset:248
	global_load_dwordx2 v[7:8], v3, s[14:15] offset:248
	v_lshrrev_b32_e32 v3, 6, v22
	v_mul_u32_u24_e32 v3, 0xc0, v3
	v_lshrrev_b32_e32 v10, 6, v44
	v_or_b32_e32 v2, v3, v2
	v_mul_u32_u24_e32 v3, 0xc0, v10
	v_lshlrev_b32_e32 v50, 2, v2
	v_or_b32_e32 v2, v3, v9
	v_lshlrev_b32_e32 v49, 2, v2
	ds_read2_b32 v[1:2], v1 offset1:224
	ds_read2_b32 v[9:10], v0 offset1:224
	;; [unrolled: 1-line block ×3, first 2 shown]
	s_waitcnt vmcnt(0) lgkmcnt(0)
	s_barrier
	v_lshrrev_b32_e32 v0, 16, v2
	v_lshrrev_b32_e32 v3, 16, v10
	;; [unrolled: 1-line block ×6, first 2 shown]
	v_mul_f16_sdwa v52, v0, v5 dst_sel:DWORD dst_unused:UNUSED_PAD src0_sel:DWORD src1_sel:WORD_1
	v_mul_f16_sdwa v54, v3, v6 dst_sel:DWORD dst_unused:UNUSED_PAD src0_sel:DWORD src1_sel:WORD_1
	v_mul_f16_sdwa v55, v11, v7 dst_sel:DWORD dst_unused:UNUSED_PAD src0_sel:DWORD src1_sel:WORD_1
	v_mul_f16_sdwa v56, v1, v7 dst_sel:DWORD dst_unused:UNUSED_PAD src0_sel:DWORD src1_sel:WORD_1
	v_mul_f16_sdwa v57, v14, v8 dst_sel:DWORD dst_unused:UNUSED_PAD src0_sel:DWORD src1_sel:WORD_1
	v_mul_f16_sdwa v58, v9, v8 dst_sel:DWORD dst_unused:UNUSED_PAD src0_sel:DWORD src1_sel:WORD_1
	v_mul_f16_sdwa v51, v2, v5 dst_sel:DWORD dst_unused:UNUSED_PAD src0_sel:DWORD src1_sel:WORD_1
	v_mul_f16_sdwa v53, v10, v6 dst_sel:DWORD dst_unused:UNUSED_PAD src0_sel:DWORD src1_sel:WORD_1
	v_fma_f16 v2, v2, v5, -v52
	v_fma_f16 v10, v10, v6, -v54
	;; [unrolled: 1-line block ×4, first 2 shown]
	v_fma_f16 v11, v11, v7, v56
	v_fma_f16 v14, v14, v8, v58
	;; [unrolled: 1-line block ×4, first 2 shown]
	v_add_f16_e32 v51, v2, v10
	v_sub_f16_e32 v55, v11, v14
	v_add_f16_e32 v52, v15, v11
	v_add_f16_e32 v11, v11, v14
	;; [unrolled: 1-line block ×4, first 2 shown]
	v_sub_f16_e32 v54, v0, v3
	v_sub_f16_e32 v1, v1, v9
	v_add_f16_e32 v57, v13, v2
	v_add_f16_e32 v58, v16, v0
	;; [unrolled: 1-line block ×3, first 2 shown]
	v_fma_f16 v13, v51, -0.5, v13
	v_fma_f16 v51, v11, -0.5, v15
	v_add_f16_e32 v11, v53, v9
	v_fma_f16 v9, v56, -0.5, v12
	v_sub_f16_e32 v2, v2, v10
	v_add_f16_e32 v52, v52, v14
	v_fma_f16 v0, v0, -0.5, v16
	v_fma_f16 v15, v54, s0, v13
	v_fma_f16 v16, v54, s1, v13
	;; [unrolled: 1-line block ×4, first 2 shown]
	v_add_f16_e32 v14, v57, v10
	v_add_f16_e32 v53, v58, v3
	v_pack_b32_f16 v3, v11, v52
	v_fma_f16 v13, v55, s1, v9
	v_fma_f16 v57, v1, s0, v51
	v_fma_f16 v55, v2, s1, v0
	v_fma_f16 v56, v2, s0, v0
	v_pack_b32_f16 v0, v12, v54
	v_cmp_gt_u16_e64 s[0:1], s2, v22
	v_pack_b32_f16 v1, v14, v53
	v_pack_b32_f16 v2, v13, v57
	;; [unrolled: 1-line block ×4, first 2 shown]
	ds_write2st64_b32 v50, v3, v0 offset1:1
	ds_write_b32 v50, v2 offset:512
	ds_write2st64_b32 v49, v1, v9 offset1:1
	ds_write_b32 v49, v10 offset:512
	s_waitcnt lgkmcnt(0)
	s_barrier
	s_waitcnt lgkmcnt(0)
                                        ; implicit-def: $vgpr58
	s_and_saveexec_b64 s[2:3], s[0:1]
	s_cbranch_execz .LBB0_3
; %bb.2:
	ds_read2st64_b32 v[11:12], v19 offset1:3
	ds_read2st64_b32 v[13:14], v19 offset0:6 offset1:9
	ds_read2st64_b32 v[15:16], v19 offset0:12 offset1:15
	ds_read_b32 v58, v19 offset:4608
	s_waitcnt lgkmcnt(3)
	v_lshrrev_b32_e32 v52, 16, v11
	v_lshrrev_b32_e32 v54, 16, v12
	s_waitcnt lgkmcnt(2)
	v_lshrrev_b32_e32 v57, 16, v13
	v_lshrrev_b32_e32 v53, 16, v14
	;; [unrolled: 3-line block ×3, first 2 shown]
	s_waitcnt lgkmcnt(0)
	v_lshrrev_b32_e32 v59, 16, v58
.LBB0_3:
	s_or_b64 exec, exec, s[2:3]
	v_add_u32_e32 v0, 0xffffff40, v22
	v_cndmask_b32_e64 v0, v0, v22, s[0:1]
	v_mul_hi_i32_i24_e32 v1, 24, v0
	v_mul_i32_i24_e32 v0, 24, v0
	v_mov_b32_e32 v2, s15
	v_add_co_u32_e64 v60, s[2:3], s14, v0
	v_addc_co_u32_e64 v61, s[2:3], v2, v1, s[2:3]
	global_load_dwordx4 v[0:3], v[60:61], off offset:760
	global_load_dwordx2 v[9:10], v[60:61], off offset:776
	v_lshlrev_b32_e32 v51, 3, v44
	v_lshlrev_b32_e32 v44, 2, v45
	s_movk_i32 s2, 0x2b26
	s_mov_b32 s6, 0xb846
	s_mov_b32 s7, 0xbcab
	s_movk_i32 s3, 0x370e
	s_waitcnt vmcnt(1)
	v_mul_f16_sdwa v45, v54, v0 dst_sel:DWORD dst_unused:UNUSED_PAD src0_sel:DWORD src1_sel:WORD_1
	v_mul_f16_sdwa v60, v12, v0 dst_sel:DWORD dst_unused:UNUSED_PAD src0_sel:DWORD src1_sel:WORD_1
	;; [unrolled: 1-line block ×7, first 2 shown]
	s_waitcnt vmcnt(0)
	v_mul_f16_sdwa v67, v56, v9 dst_sel:DWORD dst_unused:UNUSED_PAD src0_sel:DWORD src1_sel:WORD_1
	v_mul_f16_sdwa v68, v16, v9 dst_sel:DWORD dst_unused:UNUSED_PAD src0_sel:DWORD src1_sel:WORD_1
	;; [unrolled: 1-line block ×5, first 2 shown]
	v_fma_f16 v45, v12, v0, -v45
	v_fma_f16 v54, v54, v0, v60
	v_fma_f16 v13, v13, v1, -v61
	v_fma_f16 v57, v57, v1, v62
	;; [unrolled: 2-line block ×3, first 2 shown]
	v_fma_f16 v61, v15, v3, -v65
	v_fma_f16 v63, v16, v9, -v67
	v_fma_f16 v64, v56, v9, v68
	v_fma_f16 v15, v58, v10, -v69
	v_fma_f16 v16, v59, v10, v70
	v_fma_f16 v62, v55, v3, v66
	v_add_f16_e32 v12, v45, v15
	v_add_f16_e32 v53, v54, v16
	v_sub_f16_e32 v55, v45, v15
	v_sub_f16_e32 v15, v54, v16
	v_add_f16_e32 v16, v13, v63
	v_add_f16_e32 v54, v57, v64
	v_sub_f16_e32 v56, v13, v63
	v_sub_f16_e32 v45, v57, v64
	;; [unrolled: 4-line block ×4, first 2 shown]
	v_sub_f16_e32 v64, v13, v16
	v_sub_f16_e32 v65, v57, v54
	v_add_f16_e32 v62, v14, v56
	v_add_f16_e32 v68, v58, v45
	v_sub_f16_e32 v66, v14, v56
	v_sub_f16_e32 v67, v58, v45
	;; [unrolled: 1-line block ×4, first 2 shown]
	v_add_f16_e32 v13, v13, v59
	v_add_f16_e32 v57, v57, v60
	;; [unrolled: 1-line block ×4, first 2 shown]
	v_mul_f16_e32 v62, 0x3a52, v61
	v_mul_f16_e32 v68, 0x3a52, v63
	;; [unrolled: 1-line block ×4, first 2 shown]
	v_add_f16_e32 v11, v11, v13
	v_add_f16_e32 v52, v52, v57
	v_fma_f16 v14, v64, s2, v62
	v_fma_f16 v61, v65, s2, v68
	;; [unrolled: 1-line block ×8, first 2 shown]
	v_add_f16_e32 v59, v14, v60
	v_add_f16_e32 v61, v61, v69
	v_sub_f16_e32 v13, v59, v58
	v_add_f16_e32 v14, v57, v61
	s_and_saveexec_b64 s[2:3], s[0:1]
	s_cbranch_execz .LBB0_5
; %bb.4:
	v_sub_f16_e32 v55, v56, v55
	s_mov_b32 s6, 0xbb00
	v_sub_f16_e32 v53, v54, v53
	s_mov_b32 s7, 0xb9e0
	v_sub_f16_e32 v12, v16, v12
	v_sub_f16_e32 v15, v45, v15
	v_mul_f16_e32 v64, 0x2b26, v64
	v_mul_f16_e32 v67, 0xb846, v67
	v_fma_f16 v56, v55, s6, -v70
	v_fma_f16 v54, v53, s7, -v68
	;; [unrolled: 1-line block ×4, first 2 shown]
	s_movk_i32 s6, 0x39e0
	s_movk_i32 s7, 0x3b00
	v_mul_f16_e32 v65, 0x2b26, v65
	v_mul_f16_e32 v71, 0x370e, v71
	;; [unrolled: 1-line block ×4, first 2 shown]
	v_fma_f16 v15, v15, s7, -v67
	v_fma_f16 v12, v12, s6, -v64
	v_add_f16_e32 v56, v71, v56
	v_add_f16_e32 v54, v54, v69
	;; [unrolled: 1-line block ×4, first 2 shown]
	v_fma_f16 v53, v53, s6, -v65
	v_fma_f16 v55, v55, s7, -v66
	v_add_f16_e32 v15, v72, v15
	v_add_f16_e32 v12, v12, v60
	;; [unrolled: 1-line block ×3, first 2 shown]
	v_sub_f16_e32 v62, v16, v45
	v_add_f16_e32 v53, v53, v69
	v_add_f16_e32 v55, v71, v55
	;; [unrolled: 1-line block ×3, first 2 shown]
	v_sub_f16_e32 v12, v12, v15
	v_sub_f16_e32 v15, v54, v56
	v_add_f16_e32 v16, v45, v16
	v_sub_f16_e32 v45, v61, v57
	v_add_f16_e32 v54, v58, v59
	s_mov_b32 s6, 0x5040100
	v_sub_f16_e32 v63, v53, v55
	v_add_f16_e32 v53, v55, v53
	v_perm_b32 v11, v52, v11, s6
	v_pack_b32_f16 v45, v54, v45
	ds_write2st64_b32 v19, v11, v45 offset1:3
	v_pack_b32_f16 v11, v16, v15
	v_pack_b32_f16 v12, v12, v53
	ds_write2st64_b32 v19, v11, v12 offset0:6 offset1:9
	v_pack_b32_f16 v11, v60, v63
	v_pack_b32_f16 v12, v62, v68
	ds_write2st64_b32 v19, v11, v12 offset0:12 offset1:15
	v_perm_b32 v11, v14, v13, s6
	ds_write_b32 v19, v11 offset:4608
.LBB0_5:
	s_or_b64 exec, exec, s[2:3]
	v_mov_b32_e32 v11, s13
	v_addc_co_u32_e32 v45, vcc, 0, v11, vcc
	v_add_co_u32_e32 v11, vcc, 0x1500, v25
	s_mov_b64 s[2:3], vcc
	v_add_co_u32_e32 v15, vcc, 0x1000, v25
	v_addc_co_u32_e32 v16, vcc, 0, v45, vcc
	s_waitcnt lgkmcnt(0)
	s_barrier
	global_load_dword v52, v[15:16], off offset:1280
	v_addc_co_u32_e64 v12, vcc, 0, v45, s[2:3]
	global_load_dword v53, v[11:12], off offset:896
	global_load_dword v54, v[11:12], off offset:2688
	s_movk_i32 s2, 0x2000
	v_add_co_u32_e32 v15, vcc, s2, v25
	v_addc_co_u32_e32 v16, vcc, 0, v45, vcc
	global_load_dword v25, v[15:16], off offset:1664
	global_load_dword v45, v[11:12], off offset:3584
	;; [unrolled: 1-line block ×3, first 2 shown]
	ds_read2_b32 v[11:12], v19 offset1:224
	v_add_u32_e32 v57, 0x700, v19
	v_add_u32_e32 v58, 0xe00, v19
	;; [unrolled: 1-line block ×4, first 2 shown]
	s_waitcnt lgkmcnt(0)
	v_lshrrev_b32_e32 v15, 16, v11
	v_lshrrev_b32_e32 v60, 16, v12
	s_mov_b32 s2, 0xbaee
	s_movk_i32 s3, 0x3aee
	s_waitcnt vmcnt(5)
	v_mul_f16_sdwa v16, v15, v52 dst_sel:DWORD dst_unused:UNUSED_PAD src0_sel:DWORD src1_sel:WORD_1
	v_mul_f16_sdwa v61, v11, v52 dst_sel:DWORD dst_unused:UNUSED_PAD src0_sel:DWORD src1_sel:WORD_1
	v_fma_f16 v11, v11, v52, -v16
	v_fma_f16 v15, v15, v52, v61
	v_pack_b32_f16 v11, v11, v15
	s_waitcnt vmcnt(4)
	v_mul_f16_sdwa v62, v60, v53 dst_sel:DWORD dst_unused:UNUSED_PAD src0_sel:DWORD src1_sel:WORD_1
	ds_write_b32 v19, v11
	v_mul_f16_sdwa v63, v12, v53 dst_sel:DWORD dst_unused:UNUSED_PAD src0_sel:DWORD src1_sel:WORD_1
	ds_read2_b32 v[15:16], v57 offset1:224
	v_fma_f16 v52, v12, v53, -v62
	ds_read2_b32 v[11:12], v58 offset1:224
	v_fma_f16 v53, v60, v53, v63
	v_pack_b32_f16 v52, v52, v53
	s_waitcnt lgkmcnt(1)
	v_lshrrev_b32_e32 v53, 16, v16
	s_waitcnt vmcnt(3)
	v_mul_f16_sdwa v60, v16, v54 dst_sel:DWORD dst_unused:UNUSED_PAD src0_sel:DWORD src1_sel:WORD_1
	s_waitcnt lgkmcnt(0)
	v_lshrrev_b32_e32 v61, 16, v11
	s_waitcnt vmcnt(1)
	v_mul_f16_sdwa v62, v11, v45 dst_sel:DWORD dst_unused:UNUSED_PAD src0_sel:DWORD src1_sel:WORD_1
	v_lshrrev_b32_e32 v63, 16, v15
	s_waitcnt vmcnt(0)
	v_mul_f16_sdwa v64, v15, v55 dst_sel:DWORD dst_unused:UNUSED_PAD src0_sel:DWORD src1_sel:WORD_1
	v_lshrrev_b32_e32 v65, 16, v12
	v_mul_f16_sdwa v66, v12, v25 dst_sel:DWORD dst_unused:UNUSED_PAD src0_sel:DWORD src1_sel:WORD_1
	v_mul_f16_sdwa v67, v53, v54 dst_sel:DWORD dst_unused:UNUSED_PAD src0_sel:DWORD src1_sel:WORD_1
	v_fma_f16 v53, v53, v54, v60
	v_mul_f16_sdwa v60, v61, v45 dst_sel:DWORD dst_unused:UNUSED_PAD src0_sel:DWORD src1_sel:WORD_1
	v_fma_f16 v61, v61, v45, v62
	;; [unrolled: 2-line block ×4, first 2 shown]
	v_fma_f16 v16, v16, v54, -v67
	v_fma_f16 v11, v11, v45, -v60
	;; [unrolled: 1-line block ×4, first 2 shown]
	v_pack_b32_f16 v16, v16, v53
	v_pack_b32_f16 v11, v11, v61
	;; [unrolled: 1-line block ×4, first 2 shown]
	ds_write2_b32 v56, v16, v11 offset1:224
	ds_write2_b32 v59, v52, v15 offset1:224
	ds_write_b32 v19, v12 offset:4480
	s_waitcnt lgkmcnt(0)
	s_barrier
	ds_read2_b32 v[11:12], v19 offset1:224
	ds_read2_b32 v[15:16], v57 offset1:224
	;; [unrolled: 1-line block ×3, first 2 shown]
	s_waitcnt lgkmcnt(0)
	s_barrier
	v_pk_add_f16 v54, v11, v16 neg_lo:[0,1] neg_hi:[0,1]
	v_pk_add_f16 v16, v15, v53 neg_lo:[0,1] neg_hi:[0,1]
	v_pk_add_f16 v56, v12, v52 neg_lo:[0,1] neg_hi:[0,1]
	v_pk_fma_f16 v53, v11, 2.0, v54 op_sel_hi:[1,0,1] neg_lo:[0,0,1] neg_hi:[0,0,1]
	v_pk_fma_f16 v15, v15, 2.0, v16 op_sel_hi:[1,0,1] neg_lo:[0,0,1] neg_hi:[0,0,1]
	v_pk_fma_f16 v55, v12, 2.0, v56 op_sel_hi:[1,0,1] neg_lo:[0,0,1] neg_hi:[0,0,1]
	ds_write_b64 v27, v[53:54]
	ds_write_b64 v51, v[55:56]
	;; [unrolled: 1-line block ×3, first 2 shown]
	s_waitcnt lgkmcnt(0)
	s_barrier
	ds_read2_b32 v[11:12], v19 offset1:224
	ds_read2_b32 v[15:16], v57 offset1:224
	;; [unrolled: 1-line block ×3, first 2 shown]
	s_waitcnt lgkmcnt(0)
	s_barrier
	v_lshrrev_b32_e32 v25, 16, v11
	v_lshrrev_b32_e32 v27, 16, v16
	;; [unrolled: 1-line block ×3, first 2 shown]
	v_mul_f16_sdwa v55, v26, v16 dst_sel:DWORD dst_unused:UNUSED_PAD src0_sel:WORD_1 src1_sel:DWORD
	v_lshrrev_b32_e32 v54, 16, v45
	v_mul_f16_sdwa v59, v26, v27 dst_sel:DWORD dst_unused:UNUSED_PAD src0_sel:WORD_1 src1_sel:DWORD
	v_fma_f16 v27, v26, v27, -v55
	v_mul_f16_sdwa v55, v26, v52 dst_sel:DWORD dst_unused:UNUSED_PAD src0_sel:WORD_1 src1_sel:DWORD
	v_mul_f16_sdwa v56, v26, v44 dst_sel:DWORD dst_unused:UNUSED_PAD src0_sel:WORD_1 src1_sel:DWORD
	v_fma_f16 v16, v26, v16, v59
	v_fma_f16 v44, v26, v44, v55
	v_mul_f16_sdwa v55, v26, v54 dst_sel:DWORD dst_unused:UNUSED_PAD src0_sel:WORD_1 src1_sel:DWORD
	v_lshrrev_b32_e32 v51, 16, v12
	v_fma_f16 v52, v26, v52, -v56
	v_fma_f16 v55, v26, v45, v55
	v_mul_f16_sdwa v45, v26, v45 dst_sel:DWORD dst_unused:UNUSED_PAD src0_sel:WORD_1 src1_sel:DWORD
	v_sub_f16_e32 v16, v11, v16
	v_sub_f16_e32 v27, v25, v27
	v_lshrrev_b32_e32 v53, 16, v15
	v_fma_f16 v26, v26, v54, -v45
	v_fma_f16 v11, v11, 2.0, -v16
	v_fma_f16 v25, v25, 2.0, -v27
	v_sub_f16_e32 v44, v12, v44
	v_sub_f16_e32 v45, v51, v52
	v_fma_f16 v12, v12, 2.0, -v44
	v_fma_f16 v51, v51, 2.0, -v45
	v_sub_f16_e32 v52, v15, v55
	v_sub_f16_e32 v26, v53, v26
	v_pack_b32_f16 v11, v11, v25
	v_pack_b32_f16 v16, v16, v27
	v_fma_f16 v15, v15, 2.0, -v52
	v_fma_f16 v53, v53, 2.0, -v26
	ds_write2_b32 v29, v11, v16 offset1:2
	v_pack_b32_f16 v11, v12, v51
	v_pack_b32_f16 v12, v44, v45
	ds_write2_b32 v30, v11, v12 offset1:2
	v_pack_b32_f16 v11, v15, v53
	v_pack_b32_f16 v12, v52, v26
	ds_write2_b32 v28, v11, v12 offset1:2
	s_waitcnt lgkmcnt(0)
	s_barrier
	ds_read2_b32 v[11:12], v19 offset1:224
	ds_read2_b32 v[15:16], v57 offset1:224
	ds_read2_b32 v[25:26], v58 offset1:224
	s_waitcnt lgkmcnt(0)
	s_barrier
	v_lshrrev_b32_e32 v27, 16, v11
	v_lshrrev_b32_e32 v28, 16, v16
	v_mul_f16_sdwa v51, v31, v28 dst_sel:DWORD dst_unused:UNUSED_PAD src0_sel:WORD_1 src1_sel:DWORD
	v_lshrrev_b32_e32 v30, 16, v25
	v_fma_f16 v51, v31, v16, v51
	v_mul_f16_sdwa v16, v31, v16 dst_sel:DWORD dst_unused:UNUSED_PAD src0_sel:WORD_1 src1_sel:DWORD
	v_fma_f16 v16, v31, v28, -v16
	v_mul_f16_sdwa v28, v31, v30 dst_sel:DWORD dst_unused:UNUSED_PAD src0_sel:WORD_1 src1_sel:DWORD
	v_lshrrev_b32_e32 v45, 16, v26
	v_fma_f16 v28, v31, v25, v28
	v_mul_f16_sdwa v25, v31, v25 dst_sel:DWORD dst_unused:UNUSED_PAD src0_sel:WORD_1 src1_sel:DWORD
	v_fma_f16 v25, v31, v30, -v25
	v_mul_f16_sdwa v30, v31, v45 dst_sel:DWORD dst_unused:UNUSED_PAD src0_sel:WORD_1 src1_sel:DWORD
	v_fma_f16 v30, v31, v26, v30
	v_mul_f16_sdwa v26, v31, v26 dst_sel:DWORD dst_unused:UNUSED_PAD src0_sel:WORD_1 src1_sel:DWORD
	v_lshrrev_b32_e32 v29, 16, v12
	v_fma_f16 v26, v31, v45, -v26
	v_sub_f16_e32 v31, v11, v51
	v_sub_f16_e32 v16, v27, v16
	v_lshrrev_b32_e32 v44, 16, v15
	v_fma_f16 v11, v11, 2.0, -v31
	v_fma_f16 v27, v27, 2.0, -v16
	v_sub_f16_e32 v28, v12, v28
	v_sub_f16_e32 v25, v29, v25
	v_fma_f16 v12, v12, 2.0, -v28
	v_fma_f16 v29, v29, 2.0, -v25
	v_sub_f16_e32 v30, v15, v30
	v_sub_f16_e32 v26, v44, v26
	v_pack_b32_f16 v11, v11, v27
	v_pack_b32_f16 v16, v31, v16
	v_fma_f16 v15, v15, 2.0, -v30
	v_fma_f16 v44, v44, 2.0, -v26
	ds_write2_b32 v33, v11, v16 offset1:4
	v_pack_b32_f16 v11, v12, v29
	v_pack_b32_f16 v12, v28, v25
	ds_write2_b32 v34, v11, v12 offset1:4
	v_pack_b32_f16 v11, v15, v44
	v_pack_b32_f16 v12, v30, v26
	ds_write2_b32 v32, v11, v12 offset1:4
	s_waitcnt lgkmcnt(0)
	s_barrier
	ds_read2_b32 v[11:12], v19 offset1:224
	ds_read2_b32 v[15:16], v57 offset1:224
	ds_read2_b32 v[25:26], v58 offset1:224
	s_waitcnt lgkmcnt(0)
	s_barrier
	v_lshrrev_b32_e32 v27, 16, v11
	v_lshrrev_b32_e32 v28, 16, v16
	v_mul_f16_sdwa v33, v35, v28 dst_sel:DWORD dst_unused:UNUSED_PAD src0_sel:WORD_1 src1_sel:DWORD
	v_lshrrev_b32_e32 v30, 16, v25
	v_fma_f16 v33, v35, v16, v33
	v_mul_f16_sdwa v16, v35, v16 dst_sel:DWORD dst_unused:UNUSED_PAD src0_sel:WORD_1 src1_sel:DWORD
	v_fma_f16 v16, v35, v28, -v16
	v_mul_f16_sdwa v28, v35, v30 dst_sel:DWORD dst_unused:UNUSED_PAD src0_sel:WORD_1 src1_sel:DWORD
	v_lshrrev_b32_e32 v32, 16, v26
	v_fma_f16 v28, v35, v25, v28
	v_mul_f16_sdwa v25, v35, v25 dst_sel:DWORD dst_unused:UNUSED_PAD src0_sel:WORD_1 src1_sel:DWORD
	v_fma_f16 v25, v35, v30, -v25
	v_mul_f16_sdwa v30, v35, v32 dst_sel:DWORD dst_unused:UNUSED_PAD src0_sel:WORD_1 src1_sel:DWORD
	v_fma_f16 v30, v35, v26, v30
	v_mul_f16_sdwa v26, v35, v26 dst_sel:DWORD dst_unused:UNUSED_PAD src0_sel:WORD_1 src1_sel:DWORD
	v_lshrrev_b32_e32 v29, 16, v12
	v_fma_f16 v26, v35, v32, -v26
	v_sub_f16_e32 v32, v11, v33
	v_sub_f16_e32 v16, v27, v16
	v_lshrrev_b32_e32 v31, 16, v15
	;; [unrolled: 46-line block ×4, first 2 shown]
	v_fma_f16 v11, v11, 2.0, -v32
	v_fma_f16 v27, v27, 2.0, -v16
	v_sub_f16_e32 v28, v12, v28
	v_sub_f16_e32 v25, v29, v25
	v_fma_f16 v12, v12, 2.0, -v28
	v_fma_f16 v29, v29, 2.0, -v25
	v_sub_f16_e32 v30, v15, v30
	v_sub_f16_e32 v26, v31, v26
	v_pack_b32_f16 v11, v11, v27
	v_pack_b32_f16 v16, v32, v16
	v_fma_f16 v15, v15, 2.0, -v30
	v_fma_f16 v31, v31, 2.0, -v26
	ds_write2_b32 v47, v11, v16 offset1:32
	v_pack_b32_f16 v11, v12, v29
	v_pack_b32_f16 v12, v28, v25
	ds_write2_b32 v48, v11, v12 offset1:32
	v_pack_b32_f16 v11, v15, v31
	v_pack_b32_f16 v12, v30, v26
	ds_write2_b32 v46, v11, v12 offset1:32
	s_waitcnt lgkmcnt(0)
	s_barrier
	ds_read2_b32 v[11:12], v19 offset1:224
	ds_read2_b32 v[15:16], v57 offset1:224
	;; [unrolled: 1-line block ×3, first 2 shown]
	s_waitcnt lgkmcnt(0)
	s_barrier
	v_lshrrev_b32_e32 v27, 16, v11
	v_lshrrev_b32_e32 v28, 16, v15
	v_mul_f16_sdwa v33, v7, v28 dst_sel:DWORD dst_unused:UNUSED_PAD src0_sel:WORD_1 src1_sel:DWORD
	v_lshrrev_b32_e32 v29, 16, v25
	v_fma_f16 v33, v7, v15, v33
	v_mul_f16_sdwa v15, v7, v15 dst_sel:DWORD dst_unused:UNUSED_PAD src0_sel:WORD_1 src1_sel:DWORD
	v_fma_f16 v28, v7, v28, -v15
	v_mul_f16_sdwa v7, v8, v29 dst_sel:DWORD dst_unused:UNUSED_PAD src0_sel:WORD_1 src1_sel:DWORD
	v_lshrrev_b32_e32 v31, 16, v16
	v_fma_f16 v34, v8, v25, v7
	v_mul_f16_sdwa v7, v8, v25 dst_sel:DWORD dst_unused:UNUSED_PAD src0_sel:WORD_1 src1_sel:DWORD
	v_fma_f16 v8, v8, v29, -v7
	;; [unrolled: 5-line block ×3, first 2 shown]
	v_mul_f16_sdwa v5, v6, v32 dst_sel:DWORD dst_unused:UNUSED_PAD src0_sel:WORD_1 src1_sel:DWORD
	v_fma_f16 v35, v6, v26, v5
	v_mul_f16_sdwa v5, v6, v26 dst_sel:DWORD dst_unused:UNUSED_PAD src0_sel:WORD_1 src1_sel:DWORD
	v_fma_f16 v26, v6, v32, -v5
	v_add_f16_e32 v6, v33, v34
	v_add_f16_e32 v5, v11, v33
	v_fma_f16 v7, v6, -0.5, v11
	v_sub_f16_e32 v11, v28, v8
	v_fma_f16 v6, v11, s2, v7
	v_fma_f16 v7, v11, s3, v7
	v_add_f16_e32 v11, v27, v28
	v_add_f16_e32 v15, v11, v8
	;; [unrolled: 1-line block ×3, first 2 shown]
	v_fma_f16 v8, v8, -0.5, v27
	v_sub_f16_e32 v11, v33, v34
	v_fma_f16 v25, v11, s3, v8
	v_fma_f16 v16, v11, s2, v8
	v_add_f16_e32 v11, v29, v35
	v_lshrrev_b32_e32 v30, 16, v12
	v_add_f16_e32 v8, v12, v29
	v_fma_f16 v12, v11, -0.5, v12
	v_sub_f16_e32 v27, v31, v26
	v_fma_f16 v11, v27, s2, v12
	v_fma_f16 v12, v27, s3, v12
	v_add_f16_e32 v27, v30, v31
	v_add_f16_e32 v27, v27, v26
	;; [unrolled: 1-line block ×4, first 2 shown]
	v_fma_f16 v26, v26, -0.5, v30
	v_sub_f16_e32 v29, v29, v35
	v_fma_f16 v28, v29, s3, v26
	v_fma_f16 v26, v29, s2, v26
	v_pack_b32_f16 v29, v5, v15
	v_pack_b32_f16 v30, v6, v25
	v_add_f16_e32 v8, v8, v35
	ds_write2st64_b32 v50, v29, v30 offset1:1
	v_pack_b32_f16 v29, v7, v16
	ds_write_b32 v50, v29 offset:512
	v_pack_b32_f16 v29, v8, v27
	v_pack_b32_f16 v30, v11, v28
	ds_write2st64_b32 v49, v29, v30 offset1:1
	v_pack_b32_f16 v29, v12, v26
	ds_write_b32 v49, v29 offset:512
	s_waitcnt lgkmcnt(0)
	s_barrier
	s_and_saveexec_b64 s[2:3], s[0:1]
	s_cbranch_execz .LBB0_7
; %bb.6:
	ds_read2st64_b32 v[5:6], v19 offset1:3
	ds_read2st64_b32 v[7:8], v19 offset0:6 offset1:9
	ds_read2st64_b32 v[11:12], v19 offset0:12 offset1:15
	ds_read_b32 v13, v19 offset:4608
	s_waitcnt lgkmcnt(3)
	v_lshrrev_b32_e32 v15, 16, v5
	v_lshrrev_b32_e32 v25, 16, v6
	s_waitcnt lgkmcnt(2)
	v_lshrrev_b32_e32 v16, 16, v7
	v_lshrrev_b32_e32 v27, 16, v8
	;; [unrolled: 3-line block ×3, first 2 shown]
	s_waitcnt lgkmcnt(0)
	v_lshrrev_b32_e32 v14, 16, v13
.LBB0_7:
	s_or_b64 exec, exec, s[2:3]
	s_and_saveexec_b64 s[2:3], s[0:1]
	s_cbranch_execz .LBB0_9
; %bb.8:
	v_mul_f16_sdwa v33, v2, v27 dst_sel:DWORD dst_unused:UNUSED_PAD src0_sel:WORD_1 src1_sel:DWORD
	v_mul_f16_sdwa v29, v0, v25 dst_sel:DWORD dst_unused:UNUSED_PAD src0_sel:WORD_1 src1_sel:DWORD
	;; [unrolled: 1-line block ×3, first 2 shown]
	v_fma_f16 v33, v2, v8, v33
	v_mul_f16_sdwa v36, v1, v16 dst_sel:DWORD dst_unused:UNUSED_PAD src0_sel:WORD_1 src1_sel:DWORD
	v_mul_f16_sdwa v37, v9, v26 dst_sel:DWORD dst_unused:UNUSED_PAD src0_sel:WORD_1 src1_sel:DWORD
	;; [unrolled: 1-line block ×3, first 2 shown]
	v_fma_f16 v29, v0, v6, v29
	v_fma_f16 v30, v10, v13, v30
	v_mul_f16_sdwa v32, v3, v28 dst_sel:DWORD dst_unused:UNUSED_PAD src0_sel:WORD_1 src1_sel:DWORD
	v_fma_f16 v36, v1, v7, v36
	v_fma_f16 v37, v9, v12, v37
	v_mul_f16_sdwa v13, v10, v13 dst_sel:DWORD dst_unused:UNUSED_PAD src0_sel:WORD_1 src1_sel:DWORD
	v_mul_f16_sdwa v6, v0, v6 dst_sel:DWORD dst_unused:UNUSED_PAD src0_sel:WORD_1 src1_sel:DWORD
	v_fma_f16 v2, v2, v27, -v8
	v_mul_f16_sdwa v8, v3, v11 dst_sel:DWORD dst_unused:UNUSED_PAD src0_sel:WORD_1 src1_sel:DWORD
	v_mul_f16_sdwa v12, v9, v12 dst_sel:DWORD dst_unused:UNUSED_PAD src0_sel:WORD_1 src1_sel:DWORD
	;; [unrolled: 1-line block ×3, first 2 shown]
	v_fma_f16 v32, v3, v11, v32
	v_fma_f16 v10, v10, v14, -v13
	v_fma_f16 v0, v0, v25, -v6
	;; [unrolled: 1-line block ×5, first 2 shown]
	v_sub_f16_e32 v31, v29, v30
	v_sub_f16_e32 v34, v32, v33
	;; [unrolled: 1-line block ×3, first 2 shown]
	v_add_f16_e32 v6, v10, v0
	v_add_f16_e32 v8, v3, v2
	;; [unrolled: 1-line block ×6, first 2 shown]
	v_sub_f16_e32 v0, v0, v10
	v_sub_f16_e32 v2, v3, v2
	;; [unrolled: 1-line block ×5, first 2 shown]
	v_add_f16_e32 v34, v34, v38
	v_sub_f16_e32 v11, v6, v8
	v_add_f16_e32 v14, v7, v6
	v_sub_f16_e32 v26, v16, v25
	;; [unrolled: 2-line block ×3, first 2 shown]
	v_sub_f16_e32 v9, v2, v1
	v_add_f16_e32 v2, v2, v1
	v_add_f16_e32 v34, v34, v31
	v_mul_f16_e32 v11, 0x3a52, v11
	v_sub_f16_e32 v12, v8, v7
	s_movk_i32 s6, 0x2b26
	v_add_f16_e32 v8, v8, v14
	v_mul_f16_e32 v26, 0x3a52, v26
	v_sub_f16_e32 v28, v25, v27
	v_add_f16_e32 v25, v25, v30
	v_add_f16_e32 v2, v2, v0
	v_sub_f16_e32 v31, v38, v31
	v_sub_f16_e32 v0, v1, v0
	v_mul_f16_e32 v39, 0x3846, v39
	s_mov_b32 s0, 0xb574
	v_mul_f16_e32 v13, 0x2b26, v12
	v_fma_f16 v12, v12, s6, v11
	v_add_f16_e32 v14, v15, v8
	s_mov_b32 s7, 0xbcab
	v_mul_f16_e32 v29, 0x2b26, v28
	v_fma_f16 v28, v28, s6, v26
	v_add_f16_e32 v5, v5, v25
	v_mul_f16_e32 v9, 0x3846, v9
	v_mul_f16_e32 v32, 0xbb00, v31
	s_movk_i32 s6, 0x3574
	v_mul_f16_e32 v1, 0xbb00, v0
	v_fma_f16 v40, v35, s0, v39
	v_fma_f16 v8, v8, s7, v14
	;; [unrolled: 1-line block ×4, first 2 shown]
	s_mov_b32 s0, 0xbb00
	v_fma_f16 v32, v35, s6, -v32
	v_sub_f16_e32 v6, v7, v6
	s_mov_b32 s7, 0xb9e0
	v_fma_f16 v1, v3, s6, -v1
	s_movk_i32 s6, 0x39e0
	s_mov_b32 s1, 0xb70e
	v_fma_f16 v7, v6, s7, -v11
	v_sub_f16_e32 v16, v27, v16
	v_fma_f16 v6, v6, s6, -v13
	v_fma_f16 v0, v0, s0, -v9
	v_add_f16_e32 v12, v12, v8
	v_fma_f16 v10, v2, s1, v10
	v_add_f16_e32 v7, v7, v8
	v_fma_f16 v26, v16, s7, -v26
	v_fma_f16 v1, v2, s1, v1
	v_add_f16_e32 v6, v6, v8
	v_fma_f16 v8, v31, s0, -v39
	v_fma_f16 v0, v2, s1, v0
	v_fma_f16 v2, v16, s6, -v29
	v_fma_f16 v32, v34, s1, v32
	v_add_f16_e32 v26, v26, v25
	v_fma_f16 v8, v34, s1, v8
	v_add_f16_e32 v2, v2, v25
	v_sub_f16_e32 v3, v26, v1
	v_sub_f16_e32 v13, v6, v8
	v_add_f16_e32 v9, v0, v2
	v_add_f16_e32 v6, v8, v6
	v_sub_f16_e32 v0, v2, v0
	v_sub_f16_e32 v2, v7, v32
	v_add_f16_e32 v1, v1, v26
	v_fma_f16 v40, v34, s1, v40
	v_add_f16_e32 v28, v28, v25
	v_add_f16_e32 v11, v32, v7
	v_pack_b32_f16 v1, v1, v2
	v_pack_b32_f16 v0, v0, v6
	v_add_f16_e32 v15, v40, v12
	v_sub_f16_e32 v30, v28, v10
	v_sub_f16_e32 v7, v12, v40
	v_add_f16_e32 v8, v10, v28
	ds_write2st64_b32 v19, v1, v0 offset0:6 offset1:9
	v_pack_b32_f16 v0, v9, v13
	v_pack_b32_f16 v1, v3, v11
	;; [unrolled: 1-line block ×4, first 2 shown]
	ds_write2st64_b32 v19, v0, v1 offset0:12 offset1:15
	v_pack_b32_f16 v0, v30, v15
	ds_write2st64_b32 v19, v5, v7 offset1:3
	ds_write_b32 v19, v0 offset:4608
.LBB0_9:
	s_or_b64 exec, exec, s[2:3]
	s_waitcnt lgkmcnt(0)
	s_barrier
	ds_read2_b32 v[0:1], v19 offset1:224
	s_mov_b32 s2, 0x18618618
	s_mov_b32 s3, 0x3f486186
	v_mad_u64_u32 v[5:6], s[0:1], s10, v4, 0
	s_waitcnt lgkmcnt(0)
	v_lshrrev_b32_e32 v8, 16, v0
	v_mul_f16_sdwa v2, v24, v8 dst_sel:DWORD dst_unused:UNUSED_PAD src0_sel:WORD_1 src1_sel:DWORD
	v_fma_f16 v2, v24, v0, v2
	v_cvt_f32_f16_e32 v2, v2
	s_movk_i32 s6, 0x1ff
	v_mad_u64_u32 v[6:7], s[0:1], s11, v4, v[6:7]
	v_cvt_f64_f32_e32 v[2:3], v2
	s_movk_i32 s7, 0xffe
	v_mul_f16_sdwa v0, v24, v0 dst_sel:DWORD dst_unused:UNUSED_PAD src0_sel:WORD_1 src1_sel:DWORD
	v_fma_f16 v0, v24, v8, -v0
	v_mul_f64 v[2:3], v[2:3], s[2:3]
	s_movk_i32 s10, 0x40f
	s_mov_b32 s11, 0x8000
	v_and_or_b32 v2, v3, s6, v2
	v_cmp_ne_u32_e32 vcc, 0, v2
	v_lshrrev_b32_e32 v4, 8, v3
	v_bfe_u32 v7, v3, 20, 11
	v_cndmask_b32_e64 v2, 0, 1, vcc
	v_sub_u32_e32 v9, 0x3f1, v7
	v_and_or_b32 v2, v4, s7, v2
	v_or_b32_e32 v4, 0x1000, v2
	v_med3_i32 v9, v9, 0, 13
	v_lshrrev_b32_e32 v10, v9, v4
	v_lshlrev_b32_e32 v9, v9, v10
	v_cmp_ne_u32_e32 vcc, v9, v4
	v_cndmask_b32_e64 v4, 0, 1, vcc
	v_add_u32_e32 v9, 0xfffffc10, v7
	v_or_b32_e32 v4, v10, v4
	v_lshl_or_b32 v7, v9, 12, v2
	v_cmp_gt_i32_e32 vcc, 1, v9
	v_cndmask_b32_e32 v4, v7, v4, vcc
	v_and_b32_e32 v7, 7, v4
	v_cmp_lt_i32_e32 vcc, 5, v7
	v_cmp_eq_u32_e64 s[0:1], 3, v7
	v_cvt_f32_f16_e32 v7, v0
	v_lshrrev_b32_e32 v4, 2, v4
	s_or_b64 vcc, s[0:1], vcc
	v_addc_co_u32_e32 v4, vcc, 0, v4, vcc
	v_cvt_f64_f32_e32 v[7:8], v7
	v_mov_b32_e32 v0, 0x7c00
	v_cmp_gt_i32_e32 vcc, 31, v9
	v_cndmask_b32_e32 v4, v0, v4, vcc
	v_mul_f64 v[7:8], v[7:8], s[2:3]
	v_cmp_ne_u32_e32 vcc, 0, v2
	v_cndmask_b32_e64 v2, 0, 1, vcc
	v_lshl_or_b32 v2, v2, 9, v0
	v_cmp_eq_u32_e32 vcc, s10, v9
	v_cndmask_b32_e32 v2, v4, v2, vcc
	v_lshrrev_b32_e32 v3, 16, v3
	v_and_or_b32 v11, v3, s11, v2
	v_and_or_b32 v2, v8, s6, v7
	v_cmp_ne_u32_e32 vcc, 0, v2
	v_cndmask_b32_e64 v2, 0, 1, vcc
	v_lshrrev_b32_e32 v3, 8, v8
	v_bfe_u32 v4, v8, 20, 11
	v_and_or_b32 v2, v3, s7, v2
	v_sub_u32_e32 v7, 0x3f1, v4
	v_or_b32_e32 v3, 0x1000, v2
	v_med3_i32 v7, v7, 0, 13
	v_lshrrev_b32_e32 v9, v7, v3
	v_lshlrev_b32_e32 v7, v7, v9
	v_cmp_ne_u32_e32 vcc, v7, v3
	v_cndmask_b32_e64 v3, 0, 1, vcc
	v_add_u32_e32 v4, 0xfffffc10, v4
	v_or_b32_e32 v3, v9, v3
	v_lshl_or_b32 v7, v4, 12, v2
	v_cmp_gt_i32_e32 vcc, 1, v4
	v_cndmask_b32_e32 v3, v7, v3, vcc
	v_and_b32_e32 v7, 7, v3
	v_cmp_lt_i32_e32 vcc, 5, v7
	v_cmp_eq_u32_e64 s[0:1], 3, v7
	v_lshrrev_b32_e32 v3, 2, v3
	s_or_b64 vcc, s[0:1], vcc
	v_addc_co_u32_e32 v3, vcc, 0, v3, vcc
	v_cmp_gt_i32_e32 vcc, 31, v4
	v_cndmask_b32_e32 v3, v0, v3, vcc
	v_cmp_ne_u32_e32 vcc, 0, v2
	v_cndmask_b32_e64 v2, 0, 1, vcc
	v_cmp_eq_u32_e32 vcc, s10, v4
	v_add_u32_e32 v4, 0x700, v19
	v_lshl_or_b32 v2, v2, 9, v0
	ds_read2_b32 v[9:10], v4 offset1:224
	v_cndmask_b32_e32 v7, v3, v2, vcc
	v_mad_u64_u32 v[2:3], s[0:1], s8, v22, 0
	v_lshrrev_b32_e32 v8, 16, v8
	s_waitcnt lgkmcnt(0)
	v_lshrrev_b32_e32 v12, 16, v10
	v_mad_u64_u32 v[3:4], s[0:1], s9, v22, v[3:4]
	v_mul_f16_sdwa v4, v23, v12 dst_sel:DWORD dst_unused:UNUSED_PAD src0_sel:WORD_1 src1_sel:DWORD
	v_fma_f16 v4, v23, v10, v4
	v_cvt_f32_f16_e32 v4, v4
	v_and_or_b32 v13, v8, s11, v7
	v_and_b32_e32 v11, 0xffff, v11
	v_lshl_or_b32 v11, v13, 16, v11
	v_cvt_f64_f32_e32 v[7:8], v4
	v_lshlrev_b64 v[4:5], 2, v[5:6]
	v_mov_b32_e32 v13, s5
	v_add_co_u32_e32 v4, vcc, s4, v4
	v_mul_f64 v[6:7], v[7:8], s[2:3]
	v_lshlrev_b64 v[2:3], 2, v[2:3]
	v_addc_co_u32_e32 v5, vcc, v13, v5, vcc
	v_add_co_u32_e32 v2, vcc, v4, v2
	v_addc_co_u32_e32 v3, vcc, v5, v3, vcc
	v_and_or_b32 v4, v7, s6, v6
	v_cmp_ne_u32_e32 vcc, 0, v4
	v_cndmask_b32_e64 v4, 0, 1, vcc
	v_lshrrev_b32_e32 v5, 8, v7
	v_and_or_b32 v6, v5, s7, v4
	v_bfe_u32 v5, v7, 20, 11
	v_sub_u32_e32 v8, 0x3f1, v5
	v_or_b32_e32 v4, 0x1000, v6
	v_med3_i32 v8, v8, 0, 13
	global_store_dword v[2:3], v11, off
	v_lshrrev_b32_e32 v11, v8, v4
	v_lshlrev_b32_e32 v8, v8, v11
	v_mul_f16_sdwa v10, v23, v10 dst_sel:DWORD dst_unused:UNUSED_PAD src0_sel:WORD_1 src1_sel:DWORD
	v_cmp_ne_u32_e32 vcc, v8, v4
	v_fma_f16 v10, v23, v12, -v10
	v_cndmask_b32_e64 v4, 0, 1, vcc
	v_add_u32_e32 v8, 0xfffffc10, v5
	v_cvt_f32_f16_e32 v10, v10
	v_or_b32_e32 v4, v11, v4
	v_lshl_or_b32 v5, v8, 12, v6
	v_cmp_gt_i32_e32 vcc, 1, v8
	v_cndmask_b32_e32 v4, v5, v4, vcc
	v_and_b32_e32 v5, 7, v4
	v_cmp_lt_i32_e32 vcc, 5, v5
	v_cmp_eq_u32_e64 s[0:1], 3, v5
	v_lshrrev_b32_e32 v11, 2, v4
	v_cvt_f64_f32_e32 v[4:5], v10
	s_or_b64 vcc, s[0:1], vcc
	v_addc_co_u32_e32 v10, vcc, 0, v11, vcc
	v_mul_f64 v[4:5], v[4:5], s[2:3]
	v_cmp_gt_i32_e32 vcc, 31, v8
	v_cndmask_b32_e32 v10, v0, v10, vcc
	v_cmp_ne_u32_e32 vcc, 0, v6
	v_cndmask_b32_e64 v6, 0, 1, vcc
	v_lshl_or_b32 v6, v6, 9, v0
	v_cmp_eq_u32_e32 vcc, s10, v8
	v_cndmask_b32_e32 v6, v10, v6, vcc
	v_and_or_b32 v4, v5, s6, v4
	v_lshrrev_b32_e32 v7, 16, v7
	v_cmp_ne_u32_e32 vcc, 0, v4
	v_and_or_b32 v6, v7, s11, v6
	v_cndmask_b32_e64 v4, 0, 1, vcc
	v_lshrrev_b32_e32 v7, 8, v5
	v_bfe_u32 v8, v5, 20, 11
	v_and_or_b32 v4, v7, s7, v4
	v_sub_u32_e32 v10, 0x3f1, v8
	v_or_b32_e32 v7, 0x1000, v4
	v_med3_i32 v10, v10, 0, 13
	v_lshrrev_b32_e32 v11, v10, v7
	v_lshlrev_b32_e32 v10, v10, v11
	v_cmp_ne_u32_e32 vcc, v10, v7
	v_cndmask_b32_e64 v7, 0, 1, vcc
	v_add_u32_e32 v8, 0xfffffc10, v8
	v_or_b32_e32 v7, v11, v7
	v_lshl_or_b32 v10, v8, 12, v4
	v_cmp_gt_i32_e32 vcc, 1, v8
	v_cndmask_b32_e32 v7, v10, v7, vcc
	v_and_b32_e32 v10, 7, v7
	v_cmp_lt_i32_e32 vcc, 5, v10
	v_cmp_eq_u32_e64 s[0:1], 3, v10
	v_lshrrev_b32_e32 v7, 2, v7
	s_or_b64 vcc, s[0:1], vcc
	v_addc_co_u32_e32 v7, vcc, 0, v7, vcc
	v_cmp_gt_i32_e32 vcc, 31, v8
	v_cndmask_b32_e32 v7, v0, v7, vcc
	v_cmp_ne_u32_e32 vcc, 0, v4
	v_cndmask_b32_e64 v4, 0, 1, vcc
	v_lshl_or_b32 v4, v4, 9, v0
	v_cmp_eq_u32_e32 vcc, s10, v8
	v_cndmask_b32_e32 v4, v7, v4, vcc
	v_lshrrev_b32_e32 v7, 16, v1
	v_mul_f16_sdwa v8, v21, v7 dst_sel:DWORD dst_unused:UNUSED_PAD src0_sel:WORD_1 src1_sel:DWORD
	v_fma_f16 v8, v21, v1, v8
	v_cvt_f32_f16_e32 v8, v8
	v_lshrrev_b32_e32 v5, 16, v5
	v_and_or_b32 v4, v5, s11, v4
	v_and_b32_e32 v5, 0xffff, v6
	v_lshl_or_b32 v6, v4, 16, v5
	v_cvt_f64_f32_e32 v[4:5], v8
	s_mul_i32 s0, s9, 0xa80
	s_mul_hi_u32 s4, s8, 0xa80
	s_add_i32 s4, s4, s0
	v_mul_f64 v[4:5], v[4:5], s[2:3]
	s_mul_i32 s5, s8, 0xa80
	v_mov_b32_e32 v8, s4
	v_add_co_u32_e32 v2, vcc, s5, v2
	v_addc_co_u32_e32 v3, vcc, v3, v8, vcc
	global_store_dword v[2:3], v6, off
	v_and_or_b32 v4, v5, s6, v4
	v_cmp_ne_u32_e32 vcc, 0, v4
	v_cndmask_b32_e64 v4, 0, 1, vcc
	v_lshrrev_b32_e32 v6, 8, v5
	v_bfe_u32 v8, v5, 20, 11
	v_and_or_b32 v4, v6, s7, v4
	v_sub_u32_e32 v10, 0x3f1, v8
	v_or_b32_e32 v6, 0x1000, v4
	v_med3_i32 v10, v10, 0, 13
	v_lshrrev_b32_e32 v11, v10, v6
	v_lshlrev_b32_e32 v10, v10, v11
	v_mul_f16_sdwa v1, v21, v1 dst_sel:DWORD dst_unused:UNUSED_PAD src0_sel:WORD_1 src1_sel:DWORD
	v_cmp_ne_u32_e32 vcc, v10, v6
	v_fma_f16 v1, v21, v7, -v1
	v_cndmask_b32_e64 v6, 0, 1, vcc
	v_add_u32_e32 v8, 0xfffffc10, v8
	v_cvt_f32_f16_e32 v1, v1
	v_or_b32_e32 v6, v11, v6
	v_lshl_or_b32 v10, v8, 12, v4
	v_cmp_gt_i32_e32 vcc, 1, v8
	v_cndmask_b32_e32 v6, v10, v6, vcc
	v_and_b32_e32 v10, 7, v6
	v_cmp_lt_i32_e32 vcc, 5, v10
	v_cmp_eq_u32_e64 s[0:1], 3, v10
	v_lshrrev_b32_e32 v10, 2, v6
	v_cvt_f64_f32_e32 v[6:7], v1
	s_or_b64 vcc, s[0:1], vcc
	v_addc_co_u32_e32 v1, vcc, 0, v10, vcc
	v_mul_f64 v[6:7], v[6:7], s[2:3]
	v_cmp_gt_i32_e32 vcc, 31, v8
	v_cndmask_b32_e32 v1, v0, v1, vcc
	v_cmp_ne_u32_e32 vcc, 0, v4
	v_cndmask_b32_e64 v4, 0, 1, vcc
	v_lshl_or_b32 v4, v4, 9, v0
	v_cmp_eq_u32_e32 vcc, s10, v8
	v_cndmask_b32_e32 v1, v1, v4, vcc
	v_lshrrev_b32_e32 v4, 16, v5
	v_and_or_b32 v1, v4, s11, v1
	v_and_or_b32 v4, v7, s6, v6
	v_cmp_ne_u32_e32 vcc, 0, v4
	v_cndmask_b32_e64 v4, 0, 1, vcc
	v_lshrrev_b32_e32 v5, 8, v7
	v_and_or_b32 v6, v5, s7, v4
	v_bfe_u32 v5, v7, 20, 11
	v_sub_u32_e32 v8, 0x3f1, v5
	v_or_b32_e32 v4, 0x1000, v6
	v_med3_i32 v8, v8, 0, 13
	v_lshrrev_b32_e32 v10, v8, v4
	v_lshlrev_b32_e32 v8, v8, v10
	v_cmp_ne_u32_e32 vcc, v8, v4
	v_cndmask_b32_e64 v4, 0, 1, vcc
	v_add_u32_e32 v8, 0xfffffc10, v5
	v_or_b32_e32 v4, v10, v4
	v_lshl_or_b32 v5, v8, 12, v6
	v_cmp_gt_i32_e32 vcc, 1, v8
	v_cndmask_b32_e32 v4, v5, v4, vcc
	v_and_b32_e32 v5, 7, v4
	v_cmp_lt_i32_e32 vcc, 5, v5
	v_cmp_eq_u32_e64 s[0:1], 3, v5
	v_lshrrev_b32_e32 v4, 2, v4
	s_or_b64 vcc, s[0:1], vcc
	v_addc_co_u32_e32 v10, vcc, 0, v4, vcc
	v_add_u32_e32 v4, 0xe00, v19
	ds_read2_b32 v[4:5], v4 offset1:224
	v_cmp_gt_i32_e32 vcc, 31, v8
	v_cndmask_b32_e32 v10, v0, v10, vcc
	v_cmp_ne_u32_e32 vcc, 0, v6
	v_cndmask_b32_e64 v6, 0, 1, vcc
	s_waitcnt lgkmcnt(0)
	v_lshrrev_b32_e32 v11, 16, v4
	v_mul_f16_sdwa v12, v20, v11 dst_sel:DWORD dst_unused:UNUSED_PAD src0_sel:WORD_1 src1_sel:DWORD
	v_fma_f16 v12, v20, v4, v12
	v_cvt_f32_f16_e32 v12, v12
	v_lshl_or_b32 v6, v6, 9, v0
	v_cmp_eq_u32_e32 vcc, s10, v8
	v_cndmask_b32_e32 v8, v10, v6, vcc
	v_lshrrev_b32_e32 v10, 16, v7
	v_cvt_f64_f32_e32 v[6:7], v12
	v_mov_b32_e32 v12, 0xfffff900
	v_and_or_b32 v8, v10, s11, v8
	v_and_b32_e32 v10, 0xffff, v1
	v_mul_f64 v[6:7], v[6:7], s[2:3]
	v_mad_u64_u32 v[1:2], s[0:1], s8, v12, v[2:3]
	s_mul_i32 s0, s9, 0xfffff900
	s_sub_i32 s9, s0, s8
	v_lshl_or_b32 v3, v8, 16, v10
	v_add_u32_e32 v2, s9, v2
	global_store_dword v[1:2], v3, off
	v_and_or_b32 v3, v7, s6, v6
	v_cmp_ne_u32_e32 vcc, 0, v3
	v_cndmask_b32_e64 v3, 0, 1, vcc
	v_lshrrev_b32_e32 v6, 8, v7
	v_bfe_u32 v8, v7, 20, 11
	v_and_or_b32 v6, v6, s7, v3
	v_sub_u32_e32 v10, 0x3f1, v8
	v_or_b32_e32 v3, 0x1000, v6
	v_med3_i32 v10, v10, 0, 13
	v_lshrrev_b32_e32 v13, v10, v3
	v_lshlrev_b32_e32 v10, v10, v13
	v_mul_f16_sdwa v4, v20, v4 dst_sel:DWORD dst_unused:UNUSED_PAD src0_sel:WORD_1 src1_sel:DWORD
	v_cmp_ne_u32_e32 vcc, v10, v3
	v_fma_f16 v4, v20, v11, -v4
	v_cndmask_b32_e64 v3, 0, 1, vcc
	v_add_u32_e32 v8, 0xfffffc10, v8
	v_cvt_f32_f16_e32 v4, v4
	v_or_b32_e32 v3, v13, v3
	v_lshl_or_b32 v10, v8, 12, v6
	v_cmp_gt_i32_e32 vcc, 1, v8
	v_cndmask_b32_e32 v3, v10, v3, vcc
	v_and_b32_e32 v10, 7, v3
	v_cmp_lt_i32_e32 vcc, 5, v10
	v_cmp_eq_u32_e64 s[0:1], 3, v10
	v_lshrrev_b32_e32 v10, 2, v3
	v_cvt_f64_f32_e32 v[3:4], v4
	s_or_b64 vcc, s[0:1], vcc
	v_addc_co_u32_e32 v10, vcc, 0, v10, vcc
	v_mul_f64 v[3:4], v[3:4], s[2:3]
	v_cmp_gt_i32_e32 vcc, 31, v8
	v_cndmask_b32_e32 v10, v0, v10, vcc
	v_cmp_ne_u32_e32 vcc, 0, v6
	v_cndmask_b32_e64 v6, 0, 1, vcc
	v_lshl_or_b32 v6, v6, 9, v0
	v_cmp_eq_u32_e32 vcc, s10, v8
	v_cndmask_b32_e32 v6, v10, v6, vcc
	v_and_or_b32 v3, v4, s6, v3
	v_lshrrev_b32_e32 v7, 16, v7
	v_cmp_ne_u32_e32 vcc, 0, v3
	v_and_or_b32 v8, v7, s11, v6
	v_cndmask_b32_e64 v3, 0, 1, vcc
	v_lshrrev_b32_e32 v6, 8, v4
	v_bfe_u32 v7, v4, 20, 11
	v_and_or_b32 v3, v6, s7, v3
	v_sub_u32_e32 v10, 0x3f1, v7
	v_or_b32_e32 v6, 0x1000, v3
	v_med3_i32 v10, v10, 0, 13
	v_lshrrev_b32_e32 v11, v10, v6
	v_lshlrev_b32_e32 v10, v10, v11
	v_cmp_ne_u32_e32 vcc, v10, v6
	v_cndmask_b32_e64 v6, 0, 1, vcc
	v_add_u32_e32 v7, 0xfffffc10, v7
	v_or_b32_e32 v6, v11, v6
	v_lshl_or_b32 v10, v7, 12, v3
	v_cmp_gt_i32_e32 vcc, 1, v7
	v_cndmask_b32_e32 v6, v10, v6, vcc
	v_and_b32_e32 v10, 7, v6
	v_cmp_lt_i32_e32 vcc, 5, v10
	v_cmp_eq_u32_e64 s[0:1], 3, v10
	v_lshrrev_b32_e32 v10, 16, v9
	v_lshrrev_b32_e32 v6, 2, v6
	s_or_b64 vcc, s[0:1], vcc
	v_mul_f16_sdwa v11, v18, v10 dst_sel:DWORD dst_unused:UNUSED_PAD src0_sel:WORD_1 src1_sel:DWORD
	v_addc_co_u32_e32 v6, vcc, 0, v6, vcc
	v_fma_f16 v11, v18, v9, v11
	v_cmp_gt_i32_e32 vcc, 31, v7
	v_cvt_f32_f16_e32 v11, v11
	v_cndmask_b32_e32 v6, v0, v6, vcc
	v_cmp_ne_u32_e32 vcc, 0, v3
	v_cndmask_b32_e64 v3, 0, 1, vcc
	v_lshl_or_b32 v3, v3, 9, v0
	v_cmp_eq_u32_e32 vcc, s10, v7
	v_cndmask_b32_e32 v3, v6, v3, vcc
	v_cvt_f64_f32_e32 v[6:7], v11
	v_lshrrev_b32_e32 v4, 16, v4
	v_and_or_b32 v11, v4, s11, v3
	v_add_co_u32_e32 v1, vcc, s5, v1
	v_mul_f64 v[3:4], v[6:7], s[2:3]
	v_mov_b32_e32 v7, s4
	v_and_b32_e32 v8, 0xffff, v8
	v_addc_co_u32_e32 v2, vcc, v2, v7, vcc
	v_lshl_or_b32 v6, v11, 16, v8
	global_store_dword v[1:2], v6, off
	v_mul_f16_sdwa v9, v18, v9 dst_sel:DWORD dst_unused:UNUSED_PAD src0_sel:WORD_1 src1_sel:DWORD
	v_and_or_b32 v3, v4, s6, v3
	v_cmp_ne_u32_e32 vcc, 0, v3
	v_cndmask_b32_e64 v3, 0, 1, vcc
	v_lshrrev_b32_e32 v6, 8, v4
	v_bfe_u32 v7, v4, 20, 11
	v_and_or_b32 v3, v6, s7, v3
	v_sub_u32_e32 v8, 0x3f1, v7
	v_or_b32_e32 v6, 0x1000, v3
	v_med3_i32 v8, v8, 0, 13
	v_lshrrev_b32_e32 v11, v8, v6
	v_lshlrev_b32_e32 v8, v8, v11
	v_cmp_ne_u32_e32 vcc, v8, v6
	v_fma_f16 v9, v18, v10, -v9
	v_cndmask_b32_e64 v6, 0, 1, vcc
	v_add_u32_e32 v8, 0xfffffc10, v7
	v_cvt_f32_f16_e32 v9, v9
	v_or_b32_e32 v6, v11, v6
	v_lshl_or_b32 v7, v8, 12, v3
	v_cmp_gt_i32_e32 vcc, 1, v8
	v_cndmask_b32_e32 v6, v7, v6, vcc
	v_and_b32_e32 v7, 7, v6
	v_cmp_lt_i32_e32 vcc, 5, v7
	v_cmp_eq_u32_e64 s[0:1], 3, v7
	v_lshrrev_b32_e32 v10, 2, v6
	v_cvt_f64_f32_e32 v[6:7], v9
	s_or_b64 vcc, s[0:1], vcc
	v_addc_co_u32_e32 v9, vcc, 0, v10, vcc
	v_mul_f64 v[6:7], v[6:7], s[2:3]
	v_cmp_gt_i32_e32 vcc, 31, v8
	v_cndmask_b32_e32 v9, v0, v9, vcc
	v_cmp_ne_u32_e32 vcc, 0, v3
	v_cndmask_b32_e64 v3, 0, 1, vcc
	v_lshl_or_b32 v3, v3, 9, v0
	v_cmp_eq_u32_e32 vcc, s10, v8
	v_cndmask_b32_e32 v3, v9, v3, vcc
	v_lshrrev_b32_e32 v4, 16, v4
	v_and_or_b32 v8, v4, s11, v3
	v_and_or_b32 v3, v7, s6, v6
	v_cmp_ne_u32_e32 vcc, 0, v3
	v_cndmask_b32_e64 v3, 0, 1, vcc
	v_lshrrev_b32_e32 v4, 8, v7
	v_bfe_u32 v6, v7, 20, 11
	v_and_or_b32 v3, v4, s7, v3
	v_sub_u32_e32 v9, 0x3f1, v6
	v_or_b32_e32 v4, 0x1000, v3
	v_med3_i32 v9, v9, 0, 13
	v_lshrrev_b32_e32 v10, v9, v4
	v_lshlrev_b32_e32 v9, v9, v10
	v_cmp_ne_u32_e32 vcc, v9, v4
	v_cndmask_b32_e64 v4, 0, 1, vcc
	v_add_u32_e32 v6, 0xfffffc10, v6
	v_or_b32_e32 v4, v10, v4
	v_lshl_or_b32 v9, v6, 12, v3
	v_cmp_gt_i32_e32 vcc, 1, v6
	v_cndmask_b32_e32 v4, v9, v4, vcc
	v_and_b32_e32 v9, 7, v4
	v_cmp_lt_i32_e32 vcc, 5, v9
	v_cmp_eq_u32_e64 s[0:1], 3, v9
	v_lshrrev_b32_e32 v4, 2, v4
	s_or_b64 vcc, s[0:1], vcc
	v_addc_co_u32_e32 v4, vcc, 0, v4, vcc
	v_cmp_gt_i32_e32 vcc, 31, v6
	v_lshrrev_b32_e32 v10, 16, v5
	v_cndmask_b32_e32 v9, v0, v4, vcc
	v_mul_f16_sdwa v4, v17, v10 dst_sel:DWORD dst_unused:UNUSED_PAD src0_sel:WORD_1 src1_sel:DWORD
	v_fma_f16 v4, v17, v5, v4
	v_cvt_f32_f16_e32 v4, v4
	v_cmp_ne_u32_e32 vcc, 0, v3
	v_cndmask_b32_e64 v3, 0, 1, vcc
	v_lshl_or_b32 v11, v3, 9, v0
	v_cvt_f64_f32_e32 v[3:4], v4
	v_mad_u64_u32 v[1:2], s[0:1], s8, v12, v[1:2]
	v_cmp_eq_u32_e32 vcc, s10, v6
	v_mul_f64 v[3:4], v[3:4], s[2:3]
	v_cndmask_b32_e32 v6, v9, v11, vcc
	v_lshrrev_b32_e32 v7, 16, v7
	v_and_or_b32 v6, v7, s11, v6
	v_and_b32_e32 v7, 0xffff, v8
	v_lshl_or_b32 v6, v6, 16, v7
	v_add_u32_e32 v2, s9, v2
	global_store_dword v[1:2], v6, off
	v_and_or_b32 v3, v4, s6, v3
	v_cmp_ne_u32_e32 vcc, 0, v3
	v_cndmask_b32_e64 v3, 0, 1, vcc
	v_lshrrev_b32_e32 v6, 8, v4
	v_bfe_u32 v7, v4, 20, 11
	v_and_or_b32 v3, v6, s7, v3
	v_sub_u32_e32 v8, 0x3f1, v7
	v_or_b32_e32 v6, 0x1000, v3
	v_med3_i32 v8, v8, 0, 13
	v_lshrrev_b32_e32 v9, v8, v6
	v_lshlrev_b32_e32 v8, v8, v9
	v_mul_f16_sdwa v5, v17, v5 dst_sel:DWORD dst_unused:UNUSED_PAD src0_sel:WORD_1 src1_sel:DWORD
	v_cmp_ne_u32_e32 vcc, v8, v6
	v_fma_f16 v5, v17, v10, -v5
	v_cndmask_b32_e64 v6, 0, 1, vcc
	v_add_u32_e32 v7, 0xfffffc10, v7
	v_cvt_f32_f16_e32 v5, v5
	v_or_b32_e32 v6, v9, v6
	v_lshl_or_b32 v8, v7, 12, v3
	v_cmp_gt_i32_e32 vcc, 1, v7
	v_cndmask_b32_e32 v6, v8, v6, vcc
	v_and_b32_e32 v8, 7, v6
	v_cmp_lt_i32_e32 vcc, 5, v8
	v_cmp_eq_u32_e64 s[0:1], 3, v8
	v_lshrrev_b32_e32 v8, 2, v6
	v_cvt_f64_f32_e32 v[5:6], v5
	s_or_b64 vcc, s[0:1], vcc
	v_addc_co_u32_e32 v8, vcc, 0, v8, vcc
	v_mul_f64 v[5:6], v[5:6], s[2:3]
	v_cmp_gt_i32_e32 vcc, 31, v7
	v_cndmask_b32_e32 v8, v0, v8, vcc
	v_cmp_ne_u32_e32 vcc, 0, v3
	v_cndmask_b32_e64 v3, 0, 1, vcc
	v_lshl_or_b32 v3, v3, 9, v0
	v_cmp_eq_u32_e32 vcc, s10, v7
	v_cndmask_b32_e32 v3, v8, v3, vcc
	v_lshrrev_b32_e32 v4, 16, v4
	v_and_or_b32 v3, v4, s11, v3
	v_and_or_b32 v4, v6, s6, v5
	v_cmp_ne_u32_e32 vcc, 0, v4
	v_cndmask_b32_e64 v4, 0, 1, vcc
	v_lshrrev_b32_e32 v5, 8, v6
	v_bfe_u32 v7, v6, 20, 11
	v_and_or_b32 v4, v5, s7, v4
	v_sub_u32_e32 v8, 0x3f1, v7
	v_or_b32_e32 v5, 0x1000, v4
	v_med3_i32 v8, v8, 0, 13
	v_lshrrev_b32_e32 v9, v8, v5
	v_lshlrev_b32_e32 v8, v8, v9
	v_cmp_ne_u32_e32 vcc, v8, v5
	v_cndmask_b32_e64 v5, 0, 1, vcc
	v_add_u32_e32 v7, 0xfffffc10, v7
	v_or_b32_e32 v5, v9, v5
	v_lshl_or_b32 v8, v7, 12, v4
	v_cmp_gt_i32_e32 vcc, 1, v7
	v_cndmask_b32_e32 v5, v8, v5, vcc
	v_and_b32_e32 v8, 7, v5
	v_cmp_lt_i32_e32 vcc, 5, v8
	v_cmp_eq_u32_e64 s[0:1], 3, v8
	v_lshrrev_b32_e32 v5, 2, v5
	s_or_b64 vcc, s[0:1], vcc
	v_addc_co_u32_e32 v5, vcc, 0, v5, vcc
	v_cmp_gt_i32_e32 vcc, 31, v7
	v_cndmask_b32_e32 v5, v0, v5, vcc
	v_cmp_ne_u32_e32 vcc, 0, v4
	v_cndmask_b32_e64 v4, 0, 1, vcc
	v_lshl_or_b32 v0, v4, 9, v0
	v_cmp_eq_u32_e32 vcc, s10, v7
	v_cndmask_b32_e32 v0, v5, v0, vcc
	v_lshrrev_b32_e32 v4, 16, v6
	v_and_or_b32 v0, v4, s11, v0
	v_and_b32_e32 v3, 0xffff, v3
	v_lshl_or_b32 v3, v0, 16, v3
	v_mov_b32_e32 v4, s4
	v_add_co_u32_e32 v0, vcc, s5, v1
	v_addc_co_u32_e32 v1, vcc, v2, v4, vcc
	global_store_dword v[0:1], v3, off
.LBB0_10:
	s_endpgm
	.section	.rodata,"a",@progbits
	.p2align	6, 0x0
	.amdhsa_kernel bluestein_single_back_len1344_dim1_half_op_CI_CI
		.amdhsa_group_segment_fixed_size 5376
		.amdhsa_private_segment_fixed_size 0
		.amdhsa_kernarg_size 104
		.amdhsa_user_sgpr_count 6
		.amdhsa_user_sgpr_private_segment_buffer 1
		.amdhsa_user_sgpr_dispatch_ptr 0
		.amdhsa_user_sgpr_queue_ptr 0
		.amdhsa_user_sgpr_kernarg_segment_ptr 1
		.amdhsa_user_sgpr_dispatch_id 0
		.amdhsa_user_sgpr_flat_scratch_init 0
		.amdhsa_user_sgpr_private_segment_size 0
		.amdhsa_uses_dynamic_stack 0
		.amdhsa_system_sgpr_private_segment_wavefront_offset 0
		.amdhsa_system_sgpr_workgroup_id_x 1
		.amdhsa_system_sgpr_workgroup_id_y 0
		.amdhsa_system_sgpr_workgroup_id_z 0
		.amdhsa_system_sgpr_workgroup_info 0
		.amdhsa_system_vgpr_workitem_id 0
		.amdhsa_next_free_vgpr 73
		.amdhsa_next_free_sgpr 20
		.amdhsa_reserve_vcc 1
		.amdhsa_reserve_flat_scratch 0
		.amdhsa_float_round_mode_32 0
		.amdhsa_float_round_mode_16_64 0
		.amdhsa_float_denorm_mode_32 3
		.amdhsa_float_denorm_mode_16_64 3
		.amdhsa_dx10_clamp 1
		.amdhsa_ieee_mode 1
		.amdhsa_fp16_overflow 0
		.amdhsa_exception_fp_ieee_invalid_op 0
		.amdhsa_exception_fp_denorm_src 0
		.amdhsa_exception_fp_ieee_div_zero 0
		.amdhsa_exception_fp_ieee_overflow 0
		.amdhsa_exception_fp_ieee_underflow 0
		.amdhsa_exception_fp_ieee_inexact 0
		.amdhsa_exception_int_div_zero 0
	.end_amdhsa_kernel
	.text
.Lfunc_end0:
	.size	bluestein_single_back_len1344_dim1_half_op_CI_CI, .Lfunc_end0-bluestein_single_back_len1344_dim1_half_op_CI_CI
                                        ; -- End function
	.section	.AMDGPU.csdata,"",@progbits
; Kernel info:
; codeLenInByte = 10852
; NumSgprs: 24
; NumVgprs: 73
; ScratchSize: 0
; MemoryBound: 0
; FloatMode: 240
; IeeeMode: 1
; LDSByteSize: 5376 bytes/workgroup (compile time only)
; SGPRBlocks: 2
; VGPRBlocks: 18
; NumSGPRsForWavesPerEU: 24
; NumVGPRsForWavesPerEU: 73
; Occupancy: 3
; WaveLimiterHint : 1
; COMPUTE_PGM_RSRC2:SCRATCH_EN: 0
; COMPUTE_PGM_RSRC2:USER_SGPR: 6
; COMPUTE_PGM_RSRC2:TRAP_HANDLER: 0
; COMPUTE_PGM_RSRC2:TGID_X_EN: 1
; COMPUTE_PGM_RSRC2:TGID_Y_EN: 0
; COMPUTE_PGM_RSRC2:TGID_Z_EN: 0
; COMPUTE_PGM_RSRC2:TIDIG_COMP_CNT: 0
	.type	__hip_cuid_12139ca9f60b0e27,@object ; @__hip_cuid_12139ca9f60b0e27
	.section	.bss,"aw",@nobits
	.globl	__hip_cuid_12139ca9f60b0e27
__hip_cuid_12139ca9f60b0e27:
	.byte	0                               ; 0x0
	.size	__hip_cuid_12139ca9f60b0e27, 1

	.ident	"AMD clang version 19.0.0git (https://github.com/RadeonOpenCompute/llvm-project roc-6.4.0 25133 c7fe45cf4b819c5991fe208aaa96edf142730f1d)"
	.section	".note.GNU-stack","",@progbits
	.addrsig
	.addrsig_sym __hip_cuid_12139ca9f60b0e27
	.amdgpu_metadata
---
amdhsa.kernels:
  - .args:
      - .actual_access:  read_only
        .address_space:  global
        .offset:         0
        .size:           8
        .value_kind:     global_buffer
      - .actual_access:  read_only
        .address_space:  global
        .offset:         8
        .size:           8
        .value_kind:     global_buffer
      - .actual_access:  read_only
        .address_space:  global
        .offset:         16
        .size:           8
        .value_kind:     global_buffer
      - .actual_access:  read_only
        .address_space:  global
        .offset:         24
        .size:           8
        .value_kind:     global_buffer
      - .actual_access:  read_only
        .address_space:  global
        .offset:         32
        .size:           8
        .value_kind:     global_buffer
      - .offset:         40
        .size:           8
        .value_kind:     by_value
      - .address_space:  global
        .offset:         48
        .size:           8
        .value_kind:     global_buffer
      - .address_space:  global
        .offset:         56
        .size:           8
        .value_kind:     global_buffer
      - .address_space:  global
        .offset:         64
        .size:           8
        .value_kind:     global_buffer
      - .address_space:  global
        .offset:         72
        .size:           8
        .value_kind:     global_buffer
      - .offset:         80
        .size:           4
        .value_kind:     by_value
      - .address_space:  global
        .offset:         88
        .size:           8
        .value_kind:     global_buffer
      - .address_space:  global
        .offset:         96
        .size:           8
        .value_kind:     global_buffer
    .group_segment_fixed_size: 5376
    .kernarg_segment_align: 8
    .kernarg_segment_size: 104
    .language:       OpenCL C
    .language_version:
      - 2
      - 0
    .max_flat_workgroup_size: 224
    .name:           bluestein_single_back_len1344_dim1_half_op_CI_CI
    .private_segment_fixed_size: 0
    .sgpr_count:     24
    .sgpr_spill_count: 0
    .symbol:         bluestein_single_back_len1344_dim1_half_op_CI_CI.kd
    .uniform_work_group_size: 1
    .uses_dynamic_stack: false
    .vgpr_count:     73
    .vgpr_spill_count: 0
    .wavefront_size: 64
amdhsa.target:   amdgcn-amd-amdhsa--gfx906
amdhsa.version:
  - 1
  - 2
...

	.end_amdgpu_metadata
